;; amdgpu-corpus repo=ROCm/rocFFT kind=compiled arch=gfx1201 opt=O3
	.text
	.amdgcn_target "amdgcn-amd-amdhsa--gfx1201"
	.amdhsa_code_object_version 6
	.protected	bluestein_single_fwd_len1372_dim1_sp_op_CI_CI ; -- Begin function bluestein_single_fwd_len1372_dim1_sp_op_CI_CI
	.globl	bluestein_single_fwd_len1372_dim1_sp_op_CI_CI
	.p2align	8
	.type	bluestein_single_fwd_len1372_dim1_sp_op_CI_CI,@function
bluestein_single_fwd_len1372_dim1_sp_op_CI_CI: ; @bluestein_single_fwd_len1372_dim1_sp_op_CI_CI
; %bb.0:
	s_load_b128 s[12:15], s[0:1], 0x28
	v_mul_u32_u24_e32 v1, 0x29d, v0
	v_mov_b32_e32 v101, 0
	s_mov_b32 s2, exec_lo
	s_delay_alu instid0(VALU_DEP_2) | instskip(NEXT) | instid1(VALU_DEP_1)
	v_lshrrev_b32_e32 v2, 16, v1
	v_lshl_add_u32 v100, ttmp9, 1, v2
	s_wait_kmcnt 0x0
	s_delay_alu instid0(VALU_DEP_1)
	v_cmpx_gt_u64_e64 s[12:13], v[100:101]
	s_cbranch_execz .LBB0_2
; %bb.1:
	s_clause 0x1
	s_load_b128 s[4:7], s[0:1], 0x18
	s_load_b128 s[8:11], s[0:1], 0x0
	v_mul_lo_u16 v1, 0x62, v2
	s_movk_i32 s2, 0xeda0
	s_mov_b32 s3, -1
	s_delay_alu instid0(VALU_DEP_1) | instskip(NEXT) | instid1(VALU_DEP_1)
	v_sub_nc_u16 v1, v0, v1
	v_and_b32_e32 v110, 0xffff, v1
	s_delay_alu instid0(VALU_DEP_1)
	v_lshlrev_b32_e32 v113, 3, v110
	s_wait_kmcnt 0x0
	s_load_b128 s[16:19], s[4:5], 0x0
	s_clause 0xb
	global_load_b64 v[72:73], v113, s[8:9] offset:5488
	global_load_b64 v[74:75], v113, s[8:9]
	global_load_b64 v[76:77], v113, s[8:9] offset:784
	global_load_b64 v[78:79], v113, s[8:9] offset:1568
	;; [unrolled: 1-line block ×10, first 2 shown]
	s_wait_kmcnt 0x0
	v_mad_co_u64_u32 v[3:4], null, s18, v100, 0
	v_mad_co_u64_u32 v[5:6], null, s16, v110, 0
	s_mul_u64 s[4:5], s[16:17], 0x1570
	s_mul_u64 s[12:13], s[16:17], s[2:3]
	s_delay_alu instid0(VALU_DEP_2) | instskip(NEXT) | instid1(VALU_DEP_2)
	v_mov_b32_e32 v0, v4
	v_mov_b32_e32 v4, v6
	s_delay_alu instid0(VALU_DEP_2) | instskip(NEXT) | instid1(VALU_DEP_2)
	v_mad_co_u64_u32 v[6:7], null, s19, v100, v[0:1]
	v_mad_co_u64_u32 v[7:8], null, s17, v110, v[4:5]
	s_delay_alu instid0(VALU_DEP_2) | instskip(NEXT) | instid1(VALU_DEP_2)
	v_mov_b32_e32 v4, v6
	v_mov_b32_e32 v6, v7
	s_delay_alu instid0(VALU_DEP_2) | instskip(NEXT) | instid1(VALU_DEP_2)
	v_lshlrev_b64_e32 v[3:4], 3, v[3:4]
	v_lshlrev_b64_e32 v[5:6], 3, v[5:6]
	s_delay_alu instid0(VALU_DEP_2) | instskip(NEXT) | instid1(VALU_DEP_3)
	v_add_co_u32 v0, vcc_lo, s14, v3
	v_add_co_ci_u32_e32 v4, vcc_lo, s15, v4, vcc_lo
	s_delay_alu instid0(VALU_DEP_2) | instskip(SKIP_1) | instid1(VALU_DEP_2)
	v_add_co_u32 v3, vcc_lo, v0, v5
	s_wait_alu 0xfffd
	v_add_co_ci_u32_e32 v4, vcc_lo, v4, v6, vcc_lo
	s_delay_alu instid0(VALU_DEP_2) | instskip(SKIP_1) | instid1(VALU_DEP_2)
	v_add_co_u32 v5, vcc_lo, v3, s4
	s_wait_alu 0xfffd
	v_add_co_ci_u32_e32 v6, vcc_lo, s5, v4, vcc_lo
	global_load_b64 v[3:4], v[3:4], off
	s_wait_alu 0xfffe
	v_add_co_u32 v7, vcc_lo, v5, s12
	s_wait_alu 0xfffd
	v_add_co_ci_u32_e32 v8, vcc_lo, s13, v6, vcc_lo
	s_delay_alu instid0(VALU_DEP_2) | instskip(SKIP_1) | instid1(VALU_DEP_2)
	v_add_co_u32 v9, vcc_lo, v7, s4
	s_wait_alu 0xfffd
	v_add_co_ci_u32_e32 v10, vcc_lo, s5, v8, vcc_lo
	s_clause 0x1
	global_load_b64 v[5:6], v[5:6], off
	global_load_b64 v[7:8], v[7:8], off
	v_add_co_u32 v11, vcc_lo, v9, s12
	s_wait_alu 0xfffd
	v_add_co_ci_u32_e32 v12, vcc_lo, s13, v10, vcc_lo
	v_and_b32_e32 v0, 1, v2
	s_delay_alu instid0(VALU_DEP_3) | instskip(SKIP_1) | instid1(VALU_DEP_3)
	v_add_co_u32 v13, vcc_lo, v11, s4
	s_wait_alu 0xfffd
	v_add_co_ci_u32_e32 v14, vcc_lo, s5, v12, vcc_lo
	s_clause 0x1
	global_load_b64 v[9:10], v[9:10], off
	global_load_b64 v[11:12], v[11:12], off
	v_add_co_u32 v15, vcc_lo, v13, s12
	s_wait_alu 0xfffd
	v_add_co_ci_u32_e32 v16, vcc_lo, s13, v14, vcc_lo
	global_load_b64 v[13:14], v[13:14], off
	v_add_co_u32 v17, vcc_lo, v15, s4
	s_wait_alu 0xfffd
	v_add_co_ci_u32_e32 v18, vcc_lo, s5, v16, vcc_lo
	;; [unrolled: 4-line block ×8, first 2 shown]
	global_load_b64 v[96:97], v113, s[8:9] offset:4704
	global_load_b64 v[27:28], v[27:28], off
	global_load_b64 v[98:99], v113, s[8:9] offset:10192
	global_load_b64 v[29:30], v[29:30], off
	s_load_b128 s[4:7], s[6:7], 0x0
	s_wait_kmcnt 0x0
	s_mul_u64 s[2:3], s[4:5], s[2:3]
	s_wait_loadcnt 0xf
	v_mul_f32_e32 v31, v4, v75
	v_mul_f32_e32 v32, v3, v75
	v_and_b32_e32 v46, 1, v110
	v_add_co_u32 v2, null, 0x62, v110
	s_delay_alu instid0(VALU_DEP_4)
	v_fmac_f32_e32 v31, v3, v74
	s_wait_loadcnt 0xe
	v_dual_mul_f32 v34, v5, v73 :: v_dual_lshlrev_b32 v45, 1, v110
	v_mul_f32_e32 v3, v6, v73
	v_cmp_eq_u32_e32 vcc_lo, 1, v0
	s_wait_loadcnt 0xd
	v_mul_f32_e32 v35, v7, v77
	v_mul_f32_e32 v33, v8, v77
	v_add_nc_u32_e32 v47, 0x188, v45
	v_add_nc_u32_e32 v49, 0x310, v45
	s_wait_alu 0xfffd
	v_cndmask_b32_e64 v0, 0, 0x2ae0, vcc_lo
	v_add_nc_u32_e32 v51, 0x498, v45
	v_fmac_f32_e32 v3, v5, v72
	s_wait_loadcnt 0xc
	v_mul_f32_e32 v5, v10, v85
	v_fma_f32 v32, v4, v74, -v32
	v_add_nc_u32_e32 v109, v0, v113
	v_fma_f32 v4, v6, v72, -v34
	v_fma_f32 v34, v8, v76, -v35
	s_wait_loadcnt 0xa
	v_dual_fmac_f32 v33, v7, v76 :: v_dual_mul_f32 v8, v13, v83
	v_add_nc_u32_e32 v106, 0x400, v109
	v_add_nc_u32_e32 v107, 0x1800, v109
	ds_store_b64 v109, v[3:4] offset:5488
	v_dual_mul_f32 v4, v9, v85 :: v_dual_mul_f32 v3, v14, v83
	v_add_nc_u32_e32 v104, 0x800, v109
	v_dual_fmac_f32 v5, v9, v84 :: v_dual_add_nc_u32 v108, 0x1000, v109
	s_delay_alu instid0(VALU_DEP_3) | instskip(NEXT) | instid1(VALU_DEP_4)
	v_fma_f32 v6, v10, v84, -v4
	v_fmac_f32_e32 v3, v13, v82
	v_fma_f32 v4, v14, v82, -v8
	v_dual_mul_f32 v10, v11, v79 :: v_dual_add_nc_u32 v105, 0x1c00, v109
	v_mul_f32_e32 v7, v12, v79
	v_add_nc_u32_e32 v103, 0x2000, v109
	ds_store_2addr_b64 v109, v[31:32], v[33:34] offset1:98
	ds_store_2addr_b64 v107, v[5:6], v[3:4] offset0:16 offset1:114
	s_wait_loadcnt 0x8
	v_mul_f32_e32 v4, v17, v87
	v_mul_f32_e32 v3, v18, v87
	;; [unrolled: 1-line block ×3, first 2 shown]
	v_fma_f32 v8, v12, v78, -v10
	s_wait_loadcnt 0x7
	v_dual_mul_f32 v10, v15, v81 :: v_dual_mul_f32 v5, v20, v91
	v_mul_f32_e32 v6, v19, v91
	s_wait_loadcnt 0x6
	v_dual_fmac_f32 v7, v11, v78 :: v_dual_mul_f32 v12, v21, v89
	v_dual_mul_f32 v11, v22, v89 :: v_dual_lshlrev_b32 v52, 3, v46
	s_wait_loadcnt 0x5
	v_mul_f32_e32 v13, v24, v93
	v_dual_mul_f32 v14, v23, v93 :: v_dual_fmac_f32 v3, v17, v86
	v_add_nc_u32_e32 v50, 0x3d4, v45
	v_fma_f32 v4, v18, v86, -v4
	s_wait_loadcnt 0x2
	v_mul_f32_e32 v17, v28, v97
	v_mul_f32_e32 v18, v27, v97
	v_fma_f32 v10, v16, v80, -v10
	v_fmac_f32_e32 v5, v19, v90
	v_fma_f32 v6, v20, v90, -v6
	v_mul_f32_e32 v16, v25, v95
	s_wait_loadcnt 0x0
	v_mul_f32_e32 v19, v30, v99
	v_dual_mul_f32 v20, v29, v99 :: v_dual_fmac_f32 v9, v15, v80
	v_dual_mul_f32 v15, v26, v95 :: v_dual_add_nc_u32 v48, 0x24c, v45
	v_fmac_f32_e32 v11, v21, v88
	v_fma_f32 v12, v22, v88, -v12
	v_fmac_f32_e32 v13, v23, v92
	v_fma_f32 v14, v24, v92, -v14
	;; [unrolled: 2-line block ×5, first 2 shown]
	ds_store_2addr_b64 v106, v[7:8], v[9:10] offset0:68 offset1:166
	ds_store_2addr_b64 v105, v[3:4], v[11:12] offset0:84 offset1:182
	;; [unrolled: 1-line block ×3, first 2 shown]
	ds_store_b64 v109, v[17:18] offset:4704
	ds_store_2addr_b64 v103, v[15:16], v[19:20] offset0:152 offset1:250
	global_wb scope:SCOPE_SE
	s_wait_dscnt 0x0
	s_barrier_signal -1
	s_barrier_wait -1
	global_inv scope:SCOPE_SE
	ds_load_2addr_b64 v[3:6], v109 offset1:98
	ds_load_2addr_b64 v[7:10], v108 offset0:76 offset1:174
	ds_load_2addr_b64 v[11:14], v107 offset0:16 offset1:114
	;; [unrolled: 1-line block ×6, first 2 shown]
	v_lshl_add_u32 v114, v110, 4, v0
	v_lshl_add_u32 v115, v2, 4, v0
	;; [unrolled: 1-line block ×7, first 2 shown]
	global_wb scope:SCOPE_SE
	s_wait_dscnt 0x0
	s_barrier_signal -1
	s_barrier_wait -1
	global_inv scope:SCOPE_SE
	v_dual_sub_f32 v31, v3, v9 :: v_dual_sub_f32 v32, v4, v10
	v_dual_sub_f32 v11, v5, v11 :: v_dual_sub_f32 v12, v6, v12
	;; [unrolled: 1-line block ×7, first 2 shown]
	v_fma_f32 v29, v3, 2.0, -v31
	v_fma_f32 v30, v4, 2.0, -v32
	;; [unrolled: 1-line block ×14, first 2 shown]
	ds_store_b128 v114, v[29:32]
	ds_store_b128 v115, v[9:12]
	;; [unrolled: 1-line block ×7, first 2 shown]
	global_wb scope:SCOPE_SE
	s_wait_dscnt 0x0
	s_barrier_signal -1
	s_barrier_wait -1
	global_inv scope:SCOPE_SE
	global_load_b64 v[101:102], v52, s[10:11]
	v_and_or_b32 v3, 0xfc, v45, v46
	v_lshlrev_b32_e32 v4, 1, v2
	ds_load_2addr_b64 v[7:10], v107 offset0:16 offset1:114
	v_and_or_b32 v15, 0x3fc, v47, v46
	v_and_or_b32 v16, 0x3fc, v48, v46
	v_lshl_add_u32 v125, v3, 3, v0
	v_and_or_b32 v11, 0x1fc, v4, v46
	ds_load_2addr_b64 v[3:6], v108 offset0:76 offset1:174
	v_lshl_add_u32 v126, v15, 3, v0
	v_lshl_add_u32 v124, v16, 3, v0
	v_and_or_b32 v19, 0x7fc, v50, v46
	v_lshl_add_u32 v127, v11, 3, v0
	ds_load_2addr_b64 v[11:14], v105 offset0:84 offset1:182
	v_and_b32_e32 v34, 3, v2
	v_lshl_add_u32 v122, v19, 3, v0
	s_wait_loadcnt_dscnt 0x1
	v_mul_f32_e32 v36, v5, v102
	v_and_or_b32 v17, 0x7fc, v49, v46
	v_mul_f32_e32 v38, v7, v102
	v_and_or_b32 v20, 0x5fc, v51, v46
	v_mul_f32_e32 v40, v9, v102
	s_wait_dscnt 0x0
	v_mul_f32_e32 v44, v13, v102
	v_lshl_add_u32 v123, v17, 3, v0
	ds_load_2addr_b64 v[15:18], v103 offset0:152 offset1:250
	v_lshl_add_u32 v121, v20, 3, v0
	ds_load_2addr_b64 v[19:22], v109 offset1:98
	ds_load_2addr_b64 v[23:26], v106 offset0:68 offset1:166
	ds_load_2addr_b64 v[27:30], v104 offset0:136 offset1:234
	v_mul_f32_e32 v42, v11, v102
	v_mul_f32_e32 v35, v6, v102
	v_dual_mul_f32 v37, v8, v102 :: v_dual_fmac_f32 v44, v14, v101
	v_dual_fmac_f32 v40, v10, v101 :: v_dual_and_b32 v33, 3, v110
	v_mul_f32_e32 v43, v14, v102
	v_fmac_f32_e32 v36, v6, v101
	v_fmac_f32_e32 v42, v12, v101
	v_fma_f32 v5, v5, v101, -v35
	v_fma_f32 v7, v7, v101, -v37
	v_fmac_f32_e32 v38, v8, v101
	v_mad_co_u64_u32 v[31:32], null, v33, 48, s[10:11]
	global_wb scope:SCOPE_SE
	s_wait_dscnt 0x0
	s_barrier_signal -1
	s_barrier_wait -1
	v_mul_f32_e32 v46, v15, v102
	v_mul_f32_e32 v39, v10, v102
	;; [unrolled: 1-line block ×4, first 2 shown]
	v_dual_mul_f32 v47, v18, v102 :: v_dual_sub_f32 v14, v28, v44
	v_mul_f32_e32 v45, v16, v102
	v_fmac_f32_e32 v46, v16, v101
	v_fma_f32 v9, v9, v101, -v39
	v_fmac_f32_e32 v48, v18, v101
	v_fma_f32 v11, v11, v101, -v41
	v_fma_f32 v17, v17, v101, -v47
	v_sub_f32_e32 v10, v24, v40
	v_fma_f32 v13, v13, v101, -v43
	v_fma_f32 v15, v15, v101, -v45
	v_dual_sub_f32 v5, v19, v5 :: v_dual_sub_f32 v8, v22, v38
	v_dual_sub_f32 v6, v20, v36 :: v_dual_sub_f32 v7, v21, v7
	;; [unrolled: 1-line block ×5, first 2 shown]
	v_sub_f32_e32 v17, v3, v17
	v_sub_f32_e32 v15, v29, v15
	v_fma_f32 v19, v19, 2.0, -v5
	v_fma_f32 v20, v20, 2.0, -v6
	;; [unrolled: 1-line block ×12, first 2 shown]
	global_inv scope:SCOPE_SE
	v_fma_f32 v29, v29, 2.0, -v15
	v_fma_f32 v30, v30, 2.0, -v16
	ds_store_2addr_b64 v125, v[19:20], v[5:6] offset1:2
	ds_store_2addr_b64 v127, v[21:22], v[7:8] offset1:2
	;; [unrolled: 1-line block ×7, first 2 shown]
	v_mad_co_u64_u32 v[3:4], null, v34, 48, s[10:11]
	global_wb scope:SCOPE_SE
	s_wait_dscnt 0x0
	s_barrier_signal -1
	s_barrier_wait -1
	global_inv scope:SCOPE_SE
	s_clause 0x5
	global_load_b128 v[68:71], v[31:32], off offset:16
	global_load_b128 v[64:67], v[31:32], off offset:32
	;; [unrolled: 1-line block ×6, first 2 shown]
	ds_load_2addr_b64 v[11:14], v108 offset0:76 offset1:174
	v_lshrrev_b16 v3, 2, v1
	v_lshrrev_b16 v4, 2, v2
	v_lshrrev_b32_e32 v5, 2, v110
	ds_load_2addr_b64 v[19:22], v105 offset0:84 offset1:182
	v_and_b32_e32 v3, 63, v3
	v_and_b32_e32 v4, 63, v4
	v_mul_u32_u24_e32 v5, 28, v5
	s_delay_alu instid0(VALU_DEP_2) | instskip(NEXT) | instid1(VALU_DEP_2)
	v_mul_lo_u16 v4, v4, 37
	v_or_b32_e32 v5, v5, v33
	s_delay_alu instid0(VALU_DEP_2) | instskip(NEXT) | instid1(VALU_DEP_2)
	v_lshrrev_b16 v112, 8, v4
	v_lshl_add_u32 v128, v5, 3, v0
	s_delay_alu instid0(VALU_DEP_2) | instskip(NEXT) | instid1(VALU_DEP_1)
	v_mul_lo_u16 v23, v112, 28
	v_sub_nc_u16 v28, v2, v23
	ds_load_2addr_b64 v[23:26], v103 offset0:152 offset1:250
	s_wait_loadcnt_dscnt 0x402
	v_mul_f32_e32 v36, v11, v65
	v_mul_lo_u16 v3, v3, 37
	s_wait_loadcnt_dscnt 0x300
	v_dual_mul_f32 v39, v20, v61 :: v_dual_mul_f32 v42, v23, v63
	v_dual_mul_f32 v40, v19, v61 :: v_dual_mul_f32 v41, v24, v63
	s_wait_loadcnt 0x1
	v_mul_f32_e32 v132, v13, v53
	v_lshrrev_b16 v111, 8, v3
	v_lshrrev_b32_e32 v3, 2, v2
	s_wait_loadcnt 0x0
	v_dual_mul_f32 v135, v22, v49 :: v_dual_fmac_f32 v36, v12, v64
	v_mul_f32_e32 v136, v21, v49
	v_mul_lo_u16 v7, v111, 28
	v_mul_u32_u24_e32 v15, 28, v3
	ds_load_2addr_b64 v[3:6], v106 offset0:68 offset1:166
	v_dual_mul_f32 v138, v25, v51 :: v_dual_and_b32 v131, 0xff, v28
	v_sub_nc_u16 v1, v1, v7
	ds_load_2addr_b64 v[7:10], v104 offset0:136 offset1:234
	v_or_b32_e32 v27, v15, v34
	ds_load_2addr_b64 v[15:18], v107 offset0:16 offset1:114
	v_mul_f32_e32 v35, v12, v65
	v_fma_f32 v12, v23, v62, -v41
	v_and_b32_e32 v130, 0xff, v1
	v_lshl_add_u32 v129, v27, 3, v0
	ds_load_2addr_b64 v[27:30], v109 offset1:98
	global_wb scope:SCOPE_SE
	s_wait_dscnt 0x0
	s_barrier_signal -1
	v_mad_co_u64_u32 v[1:2], null, v130, 48, s[10:11]
	s_barrier_wait -1
	global_inv scope:SCOPE_SE
	v_mul_f32_e32 v31, v4, v69
	v_mul_f32_e32 v32, v3, v69
	;; [unrolled: 1-line block ×3, first 2 shown]
	v_dual_mul_f32 v44, v5, v57 :: v_dual_mul_f32 v33, v8, v71
	v_mul_f32_e32 v34, v7, v71
	v_mul_f32_e32 v37, v16, v67
	;; [unrolled: 1-line block ×4, first 2 shown]
	v_dual_mul_f32 v47, v14, v53 :: v_dual_fmac_f32 v32, v4, v68
	s_delay_alu instid0(VALU_DEP_3)
	v_dual_mul_f32 v137, v26, v51 :: v_dual_fmac_f32 v38, v16, v66
	v_mul_f32_e32 v46, v9, v59
	v_dual_mul_f32 v133, v18, v55 :: v_dual_fmac_f32 v34, v8, v70
	v_mul_f32_e32 v134, v17, v55
	v_fma_f32 v3, v3, v68, -v31
	v_fma_f32 v4, v7, v70, -v33
	;; [unrolled: 1-line block ×5, first 2 shown]
	v_dual_fmac_f32 v42, v24, v62 :: v_dual_add_f32 v15, v3, v12
	v_fma_f32 v5, v5, v56, -v43
	v_fmac_f32_e32 v44, v6, v56
	v_fma_f32 v6, v9, v58, -v45
	v_fma_f32 v9, v13, v52, -v47
	v_fmac_f32_e32 v132, v14, v52
	v_fma_f32 v13, v21, v48, -v135
	v_fma_f32 v14, v25, v50, -v137
	v_fmac_f32_e32 v40, v20, v60
	v_dual_fmac_f32 v46, v10, v58 :: v_dual_sub_f32 v3, v3, v12
	v_fma_f32 v10, v17, v54, -v133
	v_dual_fmac_f32 v134, v18, v54 :: v_dual_add_f32 v19, v7, v8
	v_fmac_f32_e32 v136, v22, v48
	v_dual_sub_f32 v12, v32, v42 :: v_dual_add_f32 v23, v6, v13
	v_dual_add_f32 v17, v4, v11 :: v_dual_fmac_f32 v138, v26, v50
	v_add_f32_e32 v20, v36, v38
	v_dual_sub_f32 v7, v8, v7 :: v_dual_sub_f32 v8, v38, v36
	s_delay_alu instid0(VALU_DEP_3)
	v_sub_f32_e32 v33, v17, v15
	v_add_f32_e32 v21, v5, v14
	v_add_f32_e32 v16, v32, v42
	v_dual_add_f32 v18, v34, v40 :: v_dual_add_f32 v25, v9, v10
	v_dual_sub_f32 v5, v5, v14 :: v_dual_sub_f32 v4, v4, v11
	v_sub_f32_e32 v11, v34, v40
	v_add_f32_e32 v24, v46, v136
	v_sub_f32_e32 v6, v6, v13
	v_sub_f32_e32 v13, v46, v136
	v_dual_add_f32 v35, v7, v4 :: v_dual_add_f32 v26, v132, v134
	v_sub_f32_e32 v37, v7, v4
	v_sub_f32_e32 v9, v10, v9
	v_dual_sub_f32 v10, v134, v132 :: v_dual_sub_f32 v39, v4, v3
	v_dual_add_f32 v31, v17, v15 :: v_dual_add_f32 v22, v44, v138
	v_dual_sub_f32 v15, v15, v19 :: v_dual_sub_f32 v14, v44, v138
	v_dual_sub_f32 v17, v19, v17 :: v_dual_add_f32 v32, v18, v16
	v_dual_sub_f32 v41, v23, v21 :: v_dual_sub_f32 v34, v18, v16
	v_sub_f32_e32 v16, v16, v20
	v_dual_add_f32 v36, v8, v11 :: v_dual_add_f32 v43, v9, v6
	v_dual_sub_f32 v38, v8, v11 :: v_dual_sub_f32 v45, v9, v6
	v_add_f32_e32 v4, v23, v21
	v_dual_sub_f32 v18, v20, v18 :: v_dual_sub_f32 v11, v11, v12
	v_dual_sub_f32 v7, v3, v7 :: v_dual_sub_f32 v8, v12, v8
	v_dual_sub_f32 v9, v5, v9 :: v_dual_add_f32 v40, v24, v22
	v_dual_sub_f32 v47, v6, v5 :: v_dual_sub_f32 v42, v24, v22
	v_add_f32_e32 v19, v19, v31
	v_sub_f32_e32 v21, v21, v25
	v_dual_sub_f32 v23, v25, v23 :: v_dual_add_f32 v44, v10, v13
	v_dual_sub_f32 v46, v10, v13 :: v_dual_sub_f32 v13, v13, v14
	v_dual_sub_f32 v10, v14, v10 :: v_dual_add_f32 v25, v25, v4
	s_delay_alu instid0(VALU_DEP_4)
	v_dual_add_f32 v20, v20, v32 :: v_dual_mul_f32 v21, 0x3f4a47b2, v21
	v_add_f32_e32 v12, v36, v12
	v_dual_mul_f32 v6, 0x3f4a47b2, v15 :: v_dual_mul_f32 v15, 0x3f4a47b2, v16
	v_mul_f32_e32 v16, 0x3d64c772, v17
	v_dual_mul_f32 v36, 0xbf08b237, v38 :: v_dual_mul_f32 v45, 0xbf08b237, v45
	v_dual_sub_f32 v22, v22, v26 :: v_dual_add_f32 v31, v35, v3
	v_dual_sub_f32 v24, v26, v24 :: v_dual_mul_f32 v35, 0xbf08b237, v37
	v_mul_f32_e32 v37, 0xbf5ff5aa, v39
	v_dual_mul_f32 v38, 0xbf5ff5aa, v11 :: v_dual_mul_f32 v133, 0xbf5ff5aa, v13
	v_add_f32_e32 v26, v26, v40
	s_delay_alu instid0(VALU_DEP_3)
	v_dual_add_f32 v40, v43, v5 :: v_dual_fmac_f32 v37, 0xbeae86e6, v7
	v_dual_add_f32 v3, v27, v19 :: v_dual_add_f32 v4, v28, v20
	v_fma_f32 v16, 0x3f3bfb3b, v33, -v16
	v_dual_add_f32 v5, v29, v25 :: v_dual_mul_f32 v32, 0x3d64c772, v18
	v_fmamk_f32 v17, v17, 0x3d64c772, v6
	v_fma_f32 v28, 0xbf3bfb3b, v33, -v6
	v_fmamk_f32 v33, v8, 0x3eae86e6, v36
	v_dual_add_f32 v14, v44, v14 :: v_dual_mul_f32 v43, 0x3d64c772, v23
	v_fma_f32 v27, 0x3f3bfb3b, v34, -v32
	v_dual_fmac_f32 v38, 0xbeae86e6, v8 :: v_dual_fmac_f32 v133, 0xbeae86e6, v10
	s_delay_alu instid0(VALU_DEP_4)
	v_fmac_f32_e32 v33, 0x3ee1c552, v12
	v_fmamk_f32 v32, v7, 0x3eae86e6, v35
	v_fmamk_f32 v7, v23, 0x3d64c772, v21
	v_fma_f32 v21, 0xbf3bfb3b, v41, -v21
	v_fmamk_f32 v18, v18, 0x3d64c772, v15
	v_fma_f32 v15, 0xbf3bfb3b, v34, -v15
	v_fma_f32 v34, 0x3f5ff5aa, v39, -v35
	;; [unrolled: 1-line block ×3, first 2 shown]
	v_add_f32_e32 v6, v30, v26
	v_fma_f32 v11, 0x3f3bfb3b, v41, -v43
	v_fmac_f32_e32 v32, 0x3ee1c552, v31
	v_dual_fmac_f32 v37, 0x3ee1c552, v31 :: v_dual_fmac_f32 v38, 0x3ee1c552, v12
	v_fmac_f32_e32 v35, 0x3ee1c552, v12
	v_fmamk_f32 v12, v25, 0xbf955555, v5
	v_mul_f32_e32 v132, 0xbf5ff5aa, v47
	v_mul_f32_e32 v46, 0xbf08b237, v46
	v_fmamk_f32 v30, v9, 0x3eae86e6, v45
	s_delay_alu instid0(VALU_DEP_4) | instskip(NEXT) | instid1(VALU_DEP_4)
	v_dual_fmac_f32 v34, 0x3ee1c552, v31 :: v_dual_add_f32 v25, v11, v12
	v_fmac_f32_e32 v132, 0xbeae86e6, v9
	v_fmamk_f32 v9, v19, 0xbf955555, v3
	v_dual_mul_f32 v22, 0x3f4a47b2, v22 :: v_dual_add_f32 v31, v7, v12
	v_fmamk_f32 v29, v10, 0x3eae86e6, v46
	v_fma_f32 v39, 0x3f5ff5aa, v13, -v46
	s_delay_alu instid0(VALU_DEP_4)
	v_dual_add_f32 v17, v17, v9 :: v_dual_mul_f32 v44, 0x3d64c772, v24
	v_add_f32_e32 v19, v28, v9
	v_fma_f32 v36, 0x3f5ff5aa, v47, -v45
	v_fmamk_f32 v10, v20, 0xbf955555, v4
	v_fmamk_f32 v8, v24, 0x3d64c772, v22
	;; [unrolled: 1-line block ×3, first 2 shown]
	s_delay_alu instid0(VALU_DEP_4)
	v_dual_fmac_f32 v29, 0x3ee1c552, v14 :: v_dual_fmac_f32 v36, 0x3ee1c552, v40
	v_dual_fmac_f32 v39, 0x3ee1c552, v14 :: v_dual_fmac_f32 v132, 0x3ee1c552, v40
	v_dual_fmac_f32 v133, 0x3ee1c552, v14 :: v_dual_add_f32 v14, v16, v9
	v_fma_f32 v23, 0x3f3bfb3b, v42, -v44
	v_fma_f32 v22, 0xbf3bfb3b, v42, -v22
	v_add_f32_e32 v20, v15, v10
	v_sub_f32_e32 v15, v19, v38
	v_dual_add_f32 v16, v27, v10 :: v_dual_add_f32 v27, v21, v12
	v_add_f32_e32 v18, v18, v10
	v_add_f32_e32 v9, v38, v19
	;; [unrolled: 1-line block ×3, first 2 shown]
	v_dual_sub_f32 v11, v14, v35 :: v_dual_fmac_f32 v30, 0x3ee1c552, v40
	v_add_f32_e32 v40, v8, v13
	v_add_f32_e32 v26, v23, v13
	;; [unrolled: 1-line block ×3, first 2 shown]
	v_dual_add_f32 v7, v33, v17 :: v_dual_sub_f32 v8, v18, v32
	v_dual_add_f32 v21, v133, v27 :: v_dual_add_f32 v12, v34, v16
	v_sub_f32_e32 v27, v27, v133
	v_dual_sub_f32 v23, v25, v39 :: v_dual_sub_f32 v10, v20, v37
	v_add_f32_e32 v13, v35, v14
	v_dual_sub_f32 v14, v16, v34 :: v_dual_sub_f32 v29, v31, v29
	v_add_f32_e32 v16, v37, v20
	v_dual_sub_f32 v17, v17, v33 :: v_dual_add_f32 v18, v32, v18
	v_sub_f32_e32 v20, v40, v30
	v_sub_f32_e32 v22, v28, v132
	v_dual_add_f32 v24, v36, v26 :: v_dual_add_f32 v25, v39, v25
	v_sub_f32_e32 v26, v26, v36
	v_add_f32_e32 v28, v132, v28
	v_add_f32_e32 v30, v30, v40
	ds_store_2addr_b64 v128, v[3:4], v[7:8] offset1:4
	ds_store_2addr_b64 v128, v[9:10], v[11:12] offset0:8 offset1:12
	ds_store_2addr_b64 v128, v[13:14], v[15:16] offset0:16 offset1:20
	ds_store_b64 v128, v[17:18] offset:192
	ds_store_2addr_b64 v129, v[5:6], v[19:20] offset1:4
	ds_store_2addr_b64 v129, v[21:22], v[23:24] offset0:8 offset1:12
	ds_store_2addr_b64 v129, v[25:26], v[27:28] offset0:16 offset1:20
	ds_store_b64 v129, v[29:30] offset:192
	v_mad_co_u64_u32 v[3:4], null, v131, 48, s[10:11]
	global_wb scope:SCOPE_SE
	s_wait_dscnt 0x0
	s_barrier_signal -1
	s_barrier_wait -1
	global_inv scope:SCOPE_SE
	s_clause 0x5
	global_load_b128 v[44:47], v[1:2], off offset:208
	global_load_b128 v[40:43], v[1:2], off offset:224
	;; [unrolled: 1-line block ×6, first 2 shown]
	v_and_b32_e32 v5, 0xffff, v111
	v_and_b32_e32 v9, 0xffff, v112
	ds_load_2addr_b64 v[1:4], v106 offset0:68 offset1:166
	v_mad_co_u64_u32 v[138:139], null, v110, 48, s[10:11]
	v_mul_u32_u24_e32 v17, 0xc4, v5
	v_mul_u32_u24_e32 v21, 0xc4, v9
	ds_load_2addr_b64 v[5:8], v104 offset0:136 offset1:234
	ds_load_2addr_b64 v[9:12], v108 offset0:76 offset1:174
	;; [unrolled: 1-line block ×3, first 2 shown]
	ds_load_2addr_b64 v[134:137], v109 offset1:98
	v_add_nc_u32_e32 v22, v17, v130
	ds_load_2addr_b64 v[17:20], v105 offset0:84 offset1:182
	v_add_nc_u32_e32 v21, v21, v131
	ds_load_2addr_b64 v[130:133], v103 offset0:152 offset1:250
	global_wb scope:SCOPE_SE
	s_wait_loadcnt_dscnt 0x0
	s_barrier_signal -1
	s_barrier_wait -1
	v_lshl_add_u32 v111, v21, 3, v0
	global_inv scope:SCOPE_SE
	v_mul_f32_e32 v141, v9, v41
	v_mul_f32_e32 v145, v17, v37
	;; [unrolled: 1-line block ×4, first 2 shown]
	v_lshl_add_u32 v112, v22, 3, v0
	v_dual_mul_f32 v0, v2, v45 :: v_dual_mul_f32 v159, v132, v27
	v_dual_mul_f32 v21, v1, v45 :: v_dual_mul_f32 v22, v6, v47
	v_mul_f32_e32 v157, v19, v25
	v_dual_mul_f32 v23, v5, v47 :: v_dual_mul_f32 v140, v10, v41
	v_fmac_f32_e32 v147, v131, v38
	s_delay_alu instid0(VALU_DEP_4)
	v_dual_mul_f32 v146, v131, v39 :: v_dual_fmac_f32 v21, v2, v44
	v_dual_mul_f32 v151, v7, v35 :: v_dual_mul_f32 v144, v18, v37
	v_dual_mul_f32 v143, v13, v43 :: v_dual_mul_f32 v148, v4, v33
	v_fmac_f32_e32 v23, v6, v46
	v_dual_mul_f32 v149, v3, v33 :: v_dual_mul_f32 v142, v14, v43
	v_dual_mul_f32 v150, v8, v35 :: v_dual_fmac_f32 v141, v10, v40
	s_delay_alu instid0(VALU_DEP_4) | instskip(SKIP_3) | instid1(VALU_DEP_3)
	v_dual_mul_f32 v152, v12, v29 :: v_dual_fmac_f32 v143, v14, v42
	v_dual_mul_f32 v153, v11, v29 :: v_dual_mul_f32 v154, v16, v31
	v_dual_fmac_f32 v145, v18, v36 :: v_dual_mul_f32 v156, v20, v25
	v_fmac_f32_e32 v159, v133, v26
	v_dual_mul_f32 v158, v133, v27 :: v_dual_fmac_f32 v153, v12, v28
	v_fma_f32 v0, v1, v44, -v0
	v_fma_f32 v1, v5, v46, -v22
	;; [unrolled: 1-line block ×4, first 2 shown]
	v_fmac_f32_e32 v151, v8, v34
	v_fma_f32 v6, v17, v36, -v144
	v_fma_f32 v3, v3, v32, -v148
	v_fmac_f32_e32 v149, v4, v32
	v_fma_f32 v5, v13, v42, -v142
	v_fma_f32 v4, v7, v34, -v150
	v_fma_f32 v7, v11, v28, -v152
	v_fma_f32 v8, v15, v30, -v154
	v_fmac_f32_e32 v155, v16, v30
	v_fma_f32 v10, v19, v24, -v156
	v_dual_fmac_f32 v157, v20, v24 :: v_dual_add_f32 v14, v1, v6
	v_fma_f32 v11, v132, v26, -v158
	v_dual_add_f32 v12, v0, v9 :: v_dual_add_f32 v13, v21, v147
	v_add_f32_e32 v15, v23, v145
	v_dual_sub_f32 v0, v0, v9 :: v_dual_sub_f32 v9, v21, v147
	v_dual_sub_f32 v1, v1, v6 :: v_dual_add_f32 v16, v2, v5
	v_dual_sub_f32 v6, v23, v145 :: v_dual_add_f32 v17, v141, v143
	v_add_f32_e32 v20, v4, v10
	v_dual_sub_f32 v2, v5, v2 :: v_dual_sub_f32 v5, v143, v141
	v_sub_f32_e32 v4, v4, v10
	v_add_f32_e32 v18, v3, v11
	v_dual_add_f32 v19, v149, v159 :: v_dual_sub_f32 v10, v151, v157
	v_dual_sub_f32 v3, v3, v11 :: v_dual_add_f32 v130, v14, v12
	v_dual_sub_f32 v11, v149, v159 :: v_dual_add_f32 v22, v7, v8
	v_dual_add_f32 v21, v151, v157 :: v_dual_sub_f32 v132, v14, v12
	v_add_f32_e32 v23, v153, v155
	v_dual_sub_f32 v7, v8, v7 :: v_dual_add_f32 v140, v2, v1
	v_sub_f32_e32 v8, v155, v153
	v_dual_add_f32 v131, v15, v13 :: v_dual_sub_f32 v12, v12, v16
	v_dual_sub_f32 v133, v15, v13 :: v_dual_sub_f32 v14, v16, v14
	v_sub_f32_e32 v13, v13, v17
	v_dual_sub_f32 v15, v17, v15 :: v_dual_sub_f32 v142, v2, v1
	v_add_f32_e32 v141, v5, v6
	v_sub_f32_e32 v143, v5, v6
	v_dual_sub_f32 v144, v1, v0 :: v_dual_add_f32 v1, v20, v18
	v_dual_sub_f32 v6, v6, v9 :: v_dual_add_f32 v145, v21, v19
	v_dual_sub_f32 v146, v20, v18 :: v_dual_sub_f32 v147, v21, v19
	v_dual_sub_f32 v18, v18, v22 :: v_dual_sub_f32 v19, v19, v23
	v_dual_add_f32 v16, v16, v130 :: v_dual_sub_f32 v21, v23, v21
	v_dual_add_f32 v148, v7, v4 :: v_dual_add_f32 v149, v8, v10
	v_dual_sub_f32 v150, v7, v4 :: v_dual_sub_f32 v151, v8, v10
	v_dual_sub_f32 v8, v11, v8 :: v_dual_add_f32 v17, v17, v131
	v_sub_f32_e32 v4, v4, v3
	v_sub_f32_e32 v10, v10, v11
	v_dual_sub_f32 v2, v0, v2 :: v_dual_sub_f32 v5, v9, v5
	v_dual_sub_f32 v20, v22, v20 :: v_dual_sub_f32 v7, v3, v7
	v_dual_add_f32 v130, v140, v0 :: v_dual_add_f32 v9, v141, v9
	v_dual_mul_f32 v12, 0x3f4a47b2, v12 :: v_dual_mul_f32 v13, 0x3f4a47b2, v13
	v_dual_mul_f32 v131, 0x3d64c772, v14 :: v_dual_mul_f32 v140, 0x3d64c772, v15
	;; [unrolled: 1-line block ×4, first 2 shown]
	v_add_f32_e32 v22, v22, v1
	v_dual_add_f32 v23, v23, v145 :: v_dual_mul_f32 v18, 0x3f4a47b2, v18
	v_dual_mul_f32 v19, 0x3f4a47b2, v19 :: v_dual_add_f32 v0, v134, v16
	v_dual_mul_f32 v150, 0xbf08b237, v150 :: v_dual_mul_f32 v151, 0xbf08b237, v151
	v_dual_mul_f32 v153, 0xbf5ff5aa, v4 :: v_dual_mul_f32 v154, 0xbf5ff5aa, v10
	v_add_f32_e32 v1, v135, v17
	v_add_f32_e32 v145, v148, v3
	v_dual_add_f32 v11, v149, v11 :: v_dual_mul_f32 v148, 0x3d64c772, v20
	v_dual_mul_f32 v149, 0x3d64c772, v21 :: v_dual_fmamk_f32 v14, v14, 0x3d64c772, v12
	v_fmamk_f32 v15, v15, 0x3d64c772, v13
	v_fma_f32 v131, 0x3f3bfb3b, v132, -v131
	v_fma_f32 v134, 0x3f3bfb3b, v133, -v140
	;; [unrolled: 1-line block ×4, first 2 shown]
	v_fmamk_f32 v132, v2, 0x3eae86e6, v141
	v_fma_f32 v135, 0x3f5ff5aa, v144, -v141
	v_fma_f32 v140, 0x3f5ff5aa, v6, -v142
	v_dual_fmac_f32 v143, 0xbeae86e6, v2 :: v_dual_fmac_f32 v152, 0xbeae86e6, v5
	v_dual_add_f32 v2, v136, v22 :: v_dual_add_f32 v3, v137, v23
	v_fmamk_f32 v136, v7, 0x3eae86e6, v150
	v_fma_f32 v141, 0x3f5ff5aa, v4, -v150
	v_dual_fmac_f32 v153, 0xbeae86e6, v7 :: v_dual_fmac_f32 v154, 0xbeae86e6, v8
	v_dual_fmamk_f32 v4, v16, 0xbf955555, v0 :: v_dual_fmamk_f32 v7, v17, 0xbf955555, v1
	v_fmamk_f32 v133, v5, 0x3eae86e6, v142
	v_fmamk_f32 v137, v8, 0x3eae86e6, v151
	v_fma_f32 v142, 0x3f5ff5aa, v10, -v151
	s_delay_alu instid0(VALU_DEP_4)
	v_dual_add_f32 v10, v131, v4 :: v_dual_fmamk_f32 v5, v20, 0x3d64c772, v18
	v_fmamk_f32 v6, v21, 0x3d64c772, v19
	v_fma_f32 v20, 0x3f3bfb3b, v146, -v148
	v_fma_f32 v21, 0x3f3bfb3b, v147, -v149
	;; [unrolled: 1-line block ×4, first 2 shown]
	v_dual_fmac_f32 v135, 0x3ee1c552, v130 :: v_dual_fmac_f32 v140, 0x3ee1c552, v9
	v_dual_fmac_f32 v143, 0x3ee1c552, v130 :: v_dual_fmac_f32 v152, 0x3ee1c552, v9
	v_fmamk_f32 v8, v22, 0xbf955555, v2
	v_add_f32_e32 v14, v14, v4
	v_dual_fmac_f32 v132, 0x3ee1c552, v130 :: v_dual_fmac_f32 v133, 0x3ee1c552, v9
	v_fmamk_f32 v9, v23, 0xbf955555, v3
	v_dual_add_f32 v15, v15, v7 :: v_dual_add_f32 v12, v12, v4
	v_dual_fmac_f32 v136, 0x3ee1c552, v145 :: v_dual_fmac_f32 v137, 0x3ee1c552, v11
	v_dual_fmac_f32 v141, 0x3ee1c552, v145 :: v_dual_fmac_f32 v142, 0x3ee1c552, v11
	;; [unrolled: 1-line block ×3, first 2 shown]
	v_dual_add_f32 v11, v134, v7 :: v_dual_add_f32 v134, v5, v8
	v_dual_add_f32 v13, v13, v7 :: v_dual_add_f32 v144, v6, v9
	;; [unrolled: 1-line block ×4, first 2 shown]
	v_dual_add_f32 v4, v133, v14 :: v_dual_sub_f32 v5, v15, v132
	s_delay_alu instid0(VALU_DEP_4)
	v_dual_add_f32 v6, v152, v12 :: v_dual_sub_f32 v7, v13, v143
	v_dual_sub_f32 v8, v10, v140 :: v_dual_add_f32 v9, v135, v11
	v_dual_add_f32 v10, v140, v10 :: v_dual_sub_f32 v11, v11, v135
	v_dual_sub_f32 v12, v12, v152 :: v_dual_add_f32 v13, v143, v13
	v_dual_sub_f32 v14, v14, v133 :: v_dual_add_f32 v15, v132, v15
	v_dual_add_f32 v16, v137, v134 :: v_dual_sub_f32 v17, v144, v136
	v_dual_add_f32 v18, v154, v130 :: v_dual_sub_f32 v19, v131, v153
	v_dual_sub_f32 v20, v22, v142 :: v_dual_add_f32 v21, v141, v23
	v_dual_add_f32 v22, v142, v22 :: v_dual_sub_f32 v23, v23, v141
	v_dual_sub_f32 v130, v130, v154 :: v_dual_add_f32 v131, v153, v131
	v_dual_sub_f32 v132, v134, v137 :: v_dual_add_f32 v133, v136, v144
	ds_store_2addr_b64 v112, v[0:1], v[4:5] offset1:28
	ds_store_2addr_b64 v112, v[6:7], v[8:9] offset0:56 offset1:84
	ds_store_2addr_b64 v112, v[10:11], v[12:13] offset0:112 offset1:140
	ds_store_b64 v112, v[14:15] offset:1344
	ds_store_2addr_b64 v111, v[2:3], v[16:17] offset1:28
	ds_store_2addr_b64 v111, v[18:19], v[20:21] offset0:56 offset1:84
	ds_store_2addr_b64 v111, v[22:23], v[130:131] offset0:112 offset1:140
	ds_store_b64 v111, v[132:133] offset:1344
	global_wb scope:SCOPE_SE
	s_wait_dscnt 0x0
	s_barrier_signal -1
	s_barrier_wait -1
	global_inv scope:SCOPE_SE
	s_clause 0x5
	global_load_b128 v[4:7], v[138:139], off offset:1552
	global_load_b128 v[0:3], v[138:139], off offset:1568
	;; [unrolled: 1-line block ×6, first 2 shown]
	ds_load_2addr_b64 v[130:133], v106 offset0:68 offset1:166
	ds_load_2addr_b64 v[134:137], v104 offset0:136 offset1:234
	;; [unrolled: 1-line block ×6, first 2 shown]
	ds_load_2addr_b64 v[154:157], v109 offset1:98
	s_wait_loadcnt_dscnt 0x505
	v_dual_mul_f32 v158, v131, v5 :: v_dual_mul_f32 v161, v134, v7
	v_dual_mul_f32 v159, v130, v5 :: v_dual_mul_f32 v160, v135, v7
	s_wait_loadcnt_dscnt 0x403
	v_dual_mul_f32 v162, v139, v1 :: v_dual_mul_f32 v167, v142, v3
	v_dual_mul_f32 v163, v138, v1 :: v_dual_mul_f32 v166, v143, v3
	s_wait_loadcnt 0x3
	v_dual_mul_f32 v164, v133, v17 :: v_dual_mul_f32 v169, v136, v19
	v_dual_mul_f32 v165, v132, v17 :: v_dual_mul_f32 v168, v137, v19
	s_wait_loadcnt_dscnt 0x201
	v_dual_mul_f32 v170, v147, v21 :: v_dual_mul_f32 v175, v150, v23
	v_dual_mul_f32 v171, v146, v21 :: v_dual_mul_f32 v174, v151, v23
	s_wait_loadcnt 0x0
	v_dual_mul_f32 v179, v148, v9 :: v_dual_mul_f32 v180, v153, v11
	v_dual_mul_f32 v172, v141, v13 :: v_dual_mul_f32 v177, v144, v15
	;; [unrolled: 1-line block ×4, first 2 shown]
	v_fma_f32 v130, v130, v4, -v158
	v_fmac_f32_e32 v179, v149, v8
	v_fmac_f32_e32 v163, v139, v0
	v_fma_f32 v139, v150, v22, -v174
	v_fmac_f32_e32 v159, v131, v4
	v_fma_f32 v131, v132, v16, -v164
	v_fma_f32 v132, v134, v6, -v160
	;; [unrolled: 1-line block ×4, first 2 shown]
	v_fmac_f32_e32 v165, v133, v16
	v_fma_f32 v133, v136, v18, -v168
	v_fma_f32 v136, v142, v2, -v166
	v_fmac_f32_e32 v161, v135, v6
	v_fma_f32 v135, v140, v12, -v172
	v_fmac_f32_e32 v173, v141, v12
	v_fmac_f32_e32 v167, v143, v2
	;; [unrolled: 1-line block ×3, first 2 shown]
	v_fma_f32 v140, v148, v8, -v178
	v_fma_f32 v141, v152, v10, -v180
	v_fmac_f32_e32 v169, v137, v18
	v_fma_f32 v137, v144, v14, -v176
	v_add_f32_e32 v142, v130, v139
	v_add_f32_e32 v144, v132, v138
	;; [unrolled: 1-line block ×3, first 2 shown]
	v_dual_add_f32 v146, v134, v136 :: v_dual_fmac_f32 v175, v151, v22
	v_fmac_f32_e32 v181, v153, v10
	v_dual_add_f32 v149, v133, v140 :: v_dual_add_f32 v150, v135, v137
	v_sub_f32_e32 v130, v130, v139
	v_sub_f32_e32 v132, v132, v138
	;; [unrolled: 1-line block ×3, first 2 shown]
	v_dual_add_f32 v143, v159, v175 :: v_dual_add_f32 v158, v144, v142
	v_sub_f32_e32 v134, v136, v134
	v_add_f32_e32 v152, v169, v179
	v_dual_fmac_f32 v177, v145, v14 :: v_dual_sub_f32 v136, v167, v163
	v_dual_add_f32 v145, v161, v171 :: v_dual_sub_f32 v162, v144, v142
	v_sub_f32_e32 v131, v131, v141
	v_dual_sub_f32 v133, v133, v140 :: v_dual_sub_f32 v168, v132, v130
	v_dual_sub_f32 v135, v137, v135 :: v_dual_sub_f32 v142, v142, v146
	v_dual_add_f32 v147, v163, v167 :: v_dual_add_f32 v160, v149, v148
	v_dual_add_f32 v153, v173, v177 :: v_dual_add_f32 v166, v134, v132
	v_dual_sub_f32 v139, v159, v175 :: v_dual_sub_f32 v164, v149, v148
	v_sub_f32_e32 v140, v169, v179
	v_dual_sub_f32 v137, v177, v173 :: v_dual_sub_f32 v144, v146, v144
	v_dual_add_f32 v151, v165, v181 :: v_dual_sub_f32 v148, v148, v150
	v_sub_f32_e32 v141, v165, v181
	v_dual_sub_f32 v149, v150, v149 :: v_dual_sub_f32 v172, v133, v131
	v_dual_sub_f32 v167, v134, v132 :: v_dual_mul_f32 v142, 0x3f4a47b2, v142
	v_dual_sub_f32 v134, v130, v134 :: v_dual_sub_f32 v163, v145, v143
	v_dual_add_f32 v132, v136, v138 :: v_dual_add_f32 v159, v145, v143
	v_add_f32_e32 v170, v135, v133
	v_dual_sub_f32 v143, v143, v147 :: v_dual_add_f32 v146, v146, v158
	v_sub_f32_e32 v171, v135, v133
	v_add_f32_e32 v161, v152, v151
	v_sub_f32_e32 v145, v147, v145
	v_dual_sub_f32 v165, v152, v151 :: v_dual_add_f32 v150, v150, v160
	v_dual_sub_f32 v151, v151, v153 :: v_dual_add_f32 v158, v166, v130
	v_dual_sub_f32 v169, v136, v138 :: v_dual_mul_f32 v160, 0x3d64c772, v144
	v_sub_f32_e32 v136, v139, v136
	v_sub_f32_e32 v138, v138, v139
	;; [unrolled: 1-line block ×3, first 2 shown]
	s_wait_dscnt 0x0
	v_dual_sub_f32 v173, v137, v140 :: v_dual_add_f32 v130, v154, v146
	v_dual_add_f32 v147, v147, v159 :: v_dual_mul_f32 v176, 0xbf5ff5aa, v172
	v_mul_f32_e32 v166, 0xbf08b237, v167
	v_dual_mul_f32 v171, 0xbf08b237, v171 :: v_dual_sub_f32 v152, v153, v152
	v_dual_add_f32 v133, v137, v140 :: v_dual_mul_f32 v174, 0x3d64c772, v149
	v_dual_sub_f32 v137, v141, v137 :: v_dual_mul_f32 v148, 0x3f4a47b2, v148
	v_add_f32_e32 v153, v153, v161
	v_dual_add_f32 v159, v170, v131 :: v_dual_fmamk_f32 v144, v144, 0x3d64c772, v142
	v_dual_mul_f32 v170, 0xbf5ff5aa, v138 :: v_dual_add_f32 v139, v132, v139
	v_add_f32_e32 v132, v156, v150
	v_fma_f32 v154, 0x3f3bfb3b, v162, -v160
	v_fma_f32 v142, 0xbf3bfb3b, v162, -v142
	s_delay_alu instid0(VALU_DEP_4)
	v_fmac_f32_e32 v170, 0xbeae86e6, v136
	v_fmamk_f32 v162, v135, 0x3eae86e6, v171
	v_fmac_f32_e32 v176, 0xbeae86e6, v135
	v_fmamk_f32 v135, v146, 0xbf955555, v130
	v_mul_f32_e32 v169, 0xbf08b237, v169
	v_dual_sub_f32 v140, v140, v141 :: v_dual_mul_f32 v167, 0xbf5ff5aa, v168
	s_delay_alu instid0(VALU_DEP_3) | instskip(NEXT) | instid1(VALU_DEP_3)
	v_dual_mul_f32 v161, 0x3d64c772, v145 :: v_dual_add_f32 v142, v142, v135
	v_dual_add_f32 v141, v133, v141 :: v_dual_fmamk_f32 v160, v136, 0x3eae86e6, v169
	v_fma_f32 v138, 0x3f5ff5aa, v138, -v169
	v_add_f32_e32 v144, v144, v135
	v_fma_f32 v136, 0x3f3bfb3b, v164, -v174
	v_fmac_f32_e32 v170, 0x3ee1c552, v139
	v_fmac_f32_e32 v160, 0x3ee1c552, v139
	;; [unrolled: 1-line block ×4, first 2 shown]
	v_fmamk_f32 v139, v150, 0xbf955555, v132
	v_mul_f32_e32 v173, 0xbf08b237, v173
	v_fma_f32 v156, 0x3f5ff5aa, v168, -v166
	v_fmac_f32_e32 v167, 0x3ee1c552, v158
	v_add_f32_e32 v133, v157, v153
	v_fmamk_f32 v157, v134, 0x3eae86e6, v166
	v_fmamk_f32 v134, v149, 0x3d64c772, v148
	v_fma_f32 v148, 0xbf3bfb3b, v164, -v148
	v_dual_mul_f32 v177, 0xbf5ff5aa, v140 :: v_dual_add_f32 v150, v136, v139
	v_dual_add_f32 v131, v155, v147 :: v_dual_fmamk_f32 v164, v137, 0x3eae86e6, v173
	v_fma_f32 v155, 0x3f3bfb3b, v163, -v161
	s_delay_alu instid0(VALU_DEP_3) | instskip(SKIP_1) | instid1(VALU_DEP_4)
	v_fmac_f32_e32 v177, 0xbeae86e6, v137
	v_fmac_f32_e32 v156, 0x3ee1c552, v158
	;; [unrolled: 1-line block ×3, first 2 shown]
	v_fmamk_f32 v137, v147, 0xbf955555, v131
	v_mul_f32_e32 v143, 0x3f4a47b2, v143
	v_fmac_f32_e32 v177, 0x3ee1c552, v141
	s_delay_alu instid0(VALU_DEP_2) | instskip(SKIP_4) | instid1(VALU_DEP_4)
	v_dual_add_f32 v146, v155, v137 :: v_dual_fmamk_f32 v145, v145, 0x3d64c772, v143
	v_fma_f32 v143, 0xbf3bfb3b, v163, -v143
	v_fma_f32 v163, 0x3f5ff5aa, v140, -v173
	v_fmamk_f32 v140, v153, 0xbf955555, v133
	v_mul_f32_e32 v151, 0x3f4a47b2, v151
	v_dual_fmac_f32 v176, 0x3ee1c552, v159 :: v_dual_add_f32 v143, v143, v137
	s_delay_alu instid0(VALU_DEP_4) | instskip(SKIP_2) | instid1(VALU_DEP_3)
	v_fmac_f32_e32 v163, 0x3ee1c552, v141
	v_add_f32_e32 v141, v154, v135
	v_add_f32_e32 v154, v148, v139
	v_dual_fmamk_f32 v149, v152, 0x3d64c772, v151 :: v_dual_sub_f32 v148, v150, v163
	s_delay_alu instid0(VALU_DEP_3) | instskip(SKIP_4) | instid1(VALU_DEP_2)
	v_sub_f32_e32 v136, v141, v138
	v_add_f32_e32 v138, v138, v141
	v_add_f32_e32 v145, v145, v137
	v_dual_fmac_f32 v157, 0x3ee1c552, v158 :: v_dual_fmac_f32 v162, 0x3ee1c552, v159
	v_dual_add_f32 v150, v163, v150 :: v_dual_mul_f32 v175, 0x3d64c772, v152
	v_dual_add_f32 v158, v134, v139 :: v_dual_sub_f32 v135, v145, v157
	v_add_f32_e32 v134, v160, v144
	v_fma_f32 v161, 0x3f5ff5aa, v172, -v171
	s_delay_alu instid0(VALU_DEP_4) | instskip(SKIP_3) | instid1(VALU_DEP_4)
	v_fma_f32 v152, 0x3f3bfb3b, v165, -v175
	v_sub_f32_e32 v141, v143, v167
	v_add_f32_e32 v137, v156, v146
	v_sub_f32_e32 v139, v146, v156
	v_dual_fmac_f32 v161, 0x3ee1c552, v159 :: v_dual_add_f32 v152, v152, v140
	v_fma_f32 v151, 0xbf3bfb3b, v165, -v151
	v_add_f32_e32 v159, v149, v140
	v_dual_add_f32 v143, v167, v143 :: v_dual_sub_f32 v144, v144, v160
	v_add_f32_e32 v145, v157, v145
	s_delay_alu instid0(VALU_DEP_4) | instskip(SKIP_2) | instid1(VALU_DEP_3)
	v_dual_add_f32 v155, v151, v140 :: v_dual_add_f32 v140, v170, v142
	v_dual_sub_f32 v142, v142, v170 :: v_dual_add_f32 v149, v161, v152
	v_dual_sub_f32 v151, v152, v161 :: v_dual_add_f32 v152, v177, v154
	v_dual_sub_f32 v153, v155, v176 :: v_dual_sub_f32 v154, v154, v177
	v_add_f32_e32 v155, v176, v155
	v_add_f32_e32 v146, v164, v158
	v_dual_sub_f32 v147, v159, v162 :: v_dual_sub_f32 v156, v158, v164
	v_add_f32_e32 v157, v162, v159
	ds_store_b64 v109, v[134:135] offset:1568
	ds_store_b64 v109, v[140:141] offset:3136
	;; [unrolled: 1-line block ×6, first 2 shown]
	ds_store_2addr_b64 v109, v[130:131], v[132:133] offset1:98
	ds_store_b64 v109, v[146:147] offset:2352
	ds_store_b64 v109, v[152:153] offset:3920
	;; [unrolled: 1-line block ×6, first 2 shown]
	global_wb scope:SCOPE_SE
	s_wait_dscnt 0x0
	s_barrier_signal -1
	s_barrier_wait -1
	global_inv scope:SCOPE_SE
	global_load_b64 v[154:155], v113, s[8:9] offset:10976
	s_add_nc_u64 s[8:9], s[8:9], 0x2ae0
	s_clause 0xc
	global_load_b64 v[156:157], v113, s[8:9] offset:784
	global_load_b64 v[158:159], v113, s[8:9] offset:6272
	;; [unrolled: 1-line block ×13, first 2 shown]
	ds_load_2addr_b64 v[130:133], v109 offset1:98
	ds_load_2addr_b64 v[134:137], v107 offset0:16 offset1:114
	ds_load_2addr_b64 v[138:141], v106 offset0:68 offset1:166
	;; [unrolled: 1-line block ×5, first 2 shown]
	s_load_b64 s[8:9], s[0:1], 0x38
	s_mul_u64 s[0:1], s[4:5], 0x1570
	s_wait_loadcnt_dscnt 0xc05
	v_dual_mul_f32 v184, v133, v157 :: v_dual_mul_f32 v113, v131, v155
	v_mul_f32_e32 v183, v130, v155
	v_mul_f32_e32 v155, v132, v157
	s_wait_loadcnt_dscnt 0xb04
	v_mul_f32_e32 v157, v134, v159
	v_fma_f32 v182, v130, v154, -v113
	v_fmac_f32_e32 v183, v131, v154
	v_fma_f32 v154, v132, v156, -v184
	v_fmac_f32_e32 v155, v133, v156
	ds_load_2addr_b64 v[130:133], v103 offset0:152 offset1:250
	s_wait_loadcnt 0xa
	v_dual_mul_f32 v113, v135, v159 :: v_dual_mul_f32 v184, v137, v161
	v_mul_f32_e32 v159, v136, v161
	v_fmac_f32_e32 v157, v135, v158
	s_wait_loadcnt_dscnt 0x904
	v_mul_f32_e32 v135, v138, v163
	v_fma_f32 v156, v134, v158, -v113
	v_mul_f32_e32 v113, v139, v163
	v_fma_f32 v158, v136, v160, -v184
	v_fmac_f32_e32 v159, v137, v160
	s_wait_loadcnt_dscnt 0x703
	v_dual_mul_f32 v137, v140, v165 :: v_dual_mul_f32 v160, v143, v167
	v_mul_f32_e32 v161, v142, v167
	s_wait_loadcnt 0x6
	v_mul_f32_e32 v167, v145, v169
	v_fmac_f32_e32 v135, v139, v162
	v_mul_f32_e32 v139, v144, v169
	v_mul_f32_e32 v136, v141, v165
	v_fma_f32 v134, v138, v162, -v113
	s_wait_loadcnt_dscnt 0x502
	v_mul_f32_e32 v113, v147, v171
	v_fmac_f32_e32 v137, v141, v164
	s_wait_loadcnt 0x4
	v_dual_mul_f32 v141, v146, v171 :: v_dual_mul_f32 v162, v149, v173
	v_mul_f32_e32 v163, v148, v173
	v_fma_f32 v160, v142, v166, -v160
	v_fmac_f32_e32 v161, v143, v166
	s_wait_loadcnt_dscnt 0x201
	v_mul_f32_e32 v142, v151, v177
	v_fma_f32 v138, v144, v168, -v167
	v_mul_f32_e32 v143, v150, v177
	s_wait_loadcnt_dscnt 0x100
	v_dual_fmac_f32 v139, v145, v168 :: v_dual_mul_f32 v144, v131, v179
	v_mul_f32_e32 v145, v130, v179
	v_fma_f32 v136, v140, v164, -v136
	v_mul_f32_e32 v164, v153, v175
	s_wait_loadcnt 0x0
	v_dual_mul_f32 v165, v152, v175 :: v_dual_mul_f32 v166, v133, v181
	v_mul_f32_e32 v167, v132, v181
	v_fma_f32 v140, v146, v170, -v113
	v_fmac_f32_e32 v141, v147, v170
	v_fma_f32 v162, v148, v172, -v162
	v_fmac_f32_e32 v163, v149, v172
	v_fma_f32 v142, v150, v176, -v142
	v_fmac_f32_e32 v143, v151, v176
	v_fma_f32 v144, v130, v178, -v144
	v_fmac_f32_e32 v145, v131, v178
	v_fma_f32 v164, v152, v174, -v164
	v_fmac_f32_e32 v165, v153, v174
	v_fma_f32 v166, v132, v180, -v166
	v_fmac_f32_e32 v167, v133, v180
	ds_store_2addr_b64 v109, v[182:183], v[154:155] offset1:98
	ds_store_2addr_b64 v107, v[156:157], v[158:159] offset0:16 offset1:114
	ds_store_2addr_b64 v106, v[134:135], v[136:137] offset0:68 offset1:166
	;; [unrolled: 1-line block ×6, first 2 shown]
	global_wb scope:SCOPE_SE
	s_wait_dscnt 0x0
	s_wait_kmcnt 0x0
	s_barrier_signal -1
	s_barrier_wait -1
	global_inv scope:SCOPE_SE
	ds_load_2addr_b64 v[130:133], v109 offset1:98
	ds_load_2addr_b64 v[134:137], v107 offset0:16 offset1:114
	ds_load_2addr_b64 v[138:141], v106 offset0:68 offset1:166
	;; [unrolled: 1-line block ×6, first 2 shown]
	global_wb scope:SCOPE_SE
	s_wait_dscnt 0x0
	s_barrier_signal -1
	s_barrier_wait -1
	global_inv scope:SCOPE_SE
	v_dual_sub_f32 v134, v132, v134 :: v_dual_sub_f32 v135, v133, v135
	v_dual_sub_f32 v158, v138, v136 :: v_dual_sub_f32 v159, v139, v137
	v_sub_f32_e32 v142, v140, v142
	v_dual_sub_f32 v166, v130, v156 :: v_dual_sub_f32 v167, v131, v157
	v_dual_sub_f32 v143, v141, v143 :: v_dual_sub_f32 v162, v146, v144
	;; [unrolled: 1-line block ×4, first 2 shown]
	v_sub_f32_e32 v171, v155, v153
	v_fma_f32 v164, v130, 2.0, -v166
	v_fma_f32 v165, v131, 2.0, -v167
	;; [unrolled: 1-line block ×14, first 2 shown]
	ds_store_b128 v114, v[164:167]
	ds_store_b128 v115, v[132:135]
	ds_store_b128 v120, v[156:159]
	ds_store_b128 v119, v[140:143]
	ds_store_b128 v118, v[160:163]
	ds_store_b128 v117, v[148:151]
	ds_store_b128 v116, v[168:171]
	global_wb scope:SCOPE_SE
	s_wait_dscnt 0x0
	s_barrier_signal -1
	s_barrier_wait -1
	global_inv scope:SCOPE_SE
	ds_load_2addr_b64 v[113:116], v108 offset0:76 offset1:174
	ds_load_2addr_b64 v[117:120], v107 offset0:16 offset1:114
	;; [unrolled: 1-line block ×4, first 2 shown]
	ds_load_2addr_b64 v[138:141], v109 offset1:98
	ds_load_2addr_b64 v[142:145], v106 offset0:68 offset1:166
	ds_load_2addr_b64 v[146:149], v104 offset0:136 offset1:234
	global_wb scope:SCOPE_SE
	s_wait_dscnt 0x0
	s_barrier_signal -1
	s_barrier_wait -1
	global_inv scope:SCOPE_SE
	v_mul_f32_e32 v150, v102, v116
	v_mul_f32_e32 v151, v102, v115
	;; [unrolled: 1-line block ×14, first 2 shown]
	v_fmac_f32_e32 v150, v101, v115
	v_fma_f32 v115, v101, v116, -v151
	v_fmac_f32_e32 v152, v101, v117
	v_fma_f32 v117, v101, v118, -v153
	;; [unrolled: 2-line block ×5, first 2 shown]
	v_fma_f32 v133, v101, v135, -v161
	v_fmac_f32_e32 v162, v101, v136
	v_fma_f32 v135, v101, v137, -v102
	v_fmac_f32_e32 v160, v101, v134
	v_dual_sub_f32 v101, v138, v150 :: v_dual_sub_f32 v102, v139, v115
	v_dual_sub_f32 v115, v140, v152 :: v_dual_sub_f32 v116, v141, v117
	v_sub_f32_e32 v117, v142, v154
	v_dual_sub_f32 v118, v143, v118 :: v_dual_sub_f32 v119, v144, v156
	v_sub_f32_e32 v120, v145, v120
	v_dual_sub_f32 v130, v146, v158 :: v_dual_sub_f32 v131, v147, v131
	v_dual_sub_f32 v134, v113, v162 :: v_dual_sub_f32 v135, v114, v135
	v_dual_sub_f32 v132, v148, v160 :: v_dual_sub_f32 v133, v149, v133
	v_fma_f32 v136, v138, 2.0, -v101
	v_fma_f32 v137, v139, 2.0, -v102
	;; [unrolled: 1-line block ×14, first 2 shown]
	ds_store_2addr_b64 v125, v[136:137], v[101:102] offset1:2
	ds_store_2addr_b64 v127, v[138:139], v[115:116] offset1:2
	;; [unrolled: 1-line block ×7, first 2 shown]
	global_wb scope:SCOPE_SE
	s_wait_dscnt 0x0
	s_barrier_signal -1
	s_barrier_wait -1
	global_inv scope:SCOPE_SE
	ds_load_2addr_b64 v[113:116], v106 offset0:68 offset1:166
	ds_load_2addr_b64 v[117:120], v104 offset0:136 offset1:234
	;; [unrolled: 1-line block ×6, first 2 shown]
	ds_load_2addr_b64 v[142:145], v109 offset1:98
	v_mad_co_u64_u32 v[101:102], null, s6, v100, 0
	global_wb scope:SCOPE_SE
	s_wait_dscnt 0x0
	s_barrier_signal -1
	s_barrier_wait -1
	global_inv scope:SCOPE_SE
	v_mul_f32_e32 v149, v57, v116
	v_dual_mul_f32 v57, v57, v115 :: v_dual_mul_f32 v150, v59, v120
	v_dual_mul_f32 v146, v67, v131 :: v_dual_mul_f32 v153, v49, v137
	;; [unrolled: 1-line block ×3, first 2 shown]
	v_mul_f32_e32 v51, v51, v140
	v_mul_f32_e32 v67, v67, v130
	;; [unrolled: 1-line block ×3, first 2 shown]
	v_fmac_f32_e32 v149, v56, v115
	v_fma_f32 v56, v56, v116, -v57
	v_dual_fmac_f32 v150, v58, v119 :: v_dual_fmac_f32 v153, v48, v136
	v_mul_f32_e32 v125, v69, v114
	v_mul_f32_e32 v127, v65, v122
	;; [unrolled: 1-line block ×3, first 2 shown]
	v_fma_f32 v48, v48, v137, -v49
	v_fma_f32 v49, v50, v141, -v51
	v_mul_f32_e32 v151, v53, v124
	v_dual_mul_f32 v53, v53, v123 :: v_dual_mul_f32 v152, v55, v133
	v_fmac_f32_e32 v127, v64, v121
	v_fma_f32 v64, v64, v122, -v65
	v_fmac_f32_e32 v146, v66, v130
	v_fma_f32 v65, v66, v131, -v67
	v_dual_fmac_f32 v148, v62, v138 :: v_dual_add_f32 v67, v56, v49
	v_mul_f32_e32 v55, v55, v132
	v_sub_f32_e32 v49, v56, v49
	v_add_f32_e32 v56, v150, v153
	v_dual_fmac_f32 v125, v68, v113 :: v_dual_mul_f32 v126, v71, v118
	v_fmac_f32_e32 v151, v52, v123
	v_fma_f32 v52, v52, v124, -v53
	v_fmac_f32_e32 v152, v54, v132
	v_fma_f32 v53, v54, v133, -v55
	v_sub_f32_e32 v54, v125, v148
	v_sub_f32_e32 v66, v146, v127
	v_mul_f32_e32 v147, v61, v135
	v_mul_f32_e32 v61, v61, v134
	;; [unrolled: 1-line block ×3, first 2 shown]
	v_dual_mul_f32 v59, v59, v119 :: v_dual_fmac_f32 v126, v70, v117
	s_delay_alu instid0(VALU_DEP_4) | instskip(NEXT) | instid1(VALU_DEP_4)
	v_fmac_f32_e32 v147, v60, v134
	v_fma_f32 v60, v60, v135, -v61
	s_delay_alu instid0(VALU_DEP_4) | instskip(NEXT) | instid1(VALU_DEP_4)
	v_fma_f32 v61, v62, v139, -v63
	v_fma_f32 v57, v58, v120, -v59
	v_fmac_f32_e32 v154, v50, v140
	v_add_f32_e32 v50, v125, v148
	v_add_f32_e32 v58, v126, v147
	v_dual_add_f32 v62, v127, v146 :: v_dual_mul_f32 v69, v69, v113
	v_mul_f32_e32 v71, v71, v117
	v_sub_f32_e32 v113, v152, v151
	s_delay_alu instid0(VALU_DEP_3) | instskip(NEXT) | instid1(VALU_DEP_3)
	v_fma_f32 v68, v68, v114, -v69
	v_fma_f32 v69, v70, v118, -v71
	v_dual_add_f32 v71, v52, v53 :: v_dual_sub_f32 v52, v53, v52
	v_add_f32_e32 v53, v58, v50
	s_delay_alu instid0(VALU_DEP_4) | instskip(SKIP_1) | instid1(VALU_DEP_3)
	v_add_f32_e32 v51, v68, v61
	v_sub_f32_e32 v70, v150, v153
	v_add_f32_e32 v53, v62, v53
	v_add_f32_e32 v59, v69, v60
	v_sub_f32_e32 v60, v69, v60
	v_add_f32_e32 v69, v57, v48
	v_sub_f32_e32 v48, v57, v48
	;; [unrolled: 2-line block ×3, first 2 shown]
	v_add_f32_e32 v57, v151, v152
	s_delay_alu instid0(VALU_DEP_4) | instskip(SKIP_2) | instid1(VALU_DEP_2)
	v_sub_f32_e32 v131, v48, v49
	v_dual_sub_f32 v55, v68, v61 :: v_dual_sub_f32 v68, v149, v154
	v_sub_f32_e32 v130, v52, v48
	v_dual_mul_f32 v132, 0x3f5ff5aa, v131 :: v_dual_sub_f32 v113, v68, v113
	v_sub_f32_e32 v115, v58, v50
	v_sub_f32_e32 v50, v50, v62
	v_sub_f32_e32 v58, v62, v58
	v_sub_f32_e32 v70, v70, v68
	v_add_f32_e32 v68, v125, v68
	s_delay_alu instid0(VALU_DEP_4) | instskip(SKIP_1) | instid1(VALU_DEP_1)
	v_dual_mul_f32 v50, 0x3f4a47b2, v50 :: v_dual_add_f32 v63, v64, v65
	v_sub_f32_e32 v64, v65, v64
	v_add_f32_e32 v118, v64, v60
	v_sub_f32_e32 v120, v64, v60
	v_sub_f32_e32 v60, v60, v55
	s_delay_alu instid0(VALU_DEP_3) | instskip(NEXT) | instid1(VALU_DEP_3)
	v_dual_sub_f32 v64, v55, v64 :: v_dual_add_f32 v55, v118, v55
	v_mul_f32_e32 v118, 0x3f08b237, v120
	s_delay_alu instid0(VALU_DEP_3) | instskip(SKIP_2) | instid1(VALU_DEP_3)
	v_dual_mul_f32 v120, 0x3f5ff5aa, v60 :: v_dual_sub_f32 v61, v126, v147
	v_dual_add_f32 v65, v149, v154 :: v_dual_add_f32 v126, v52, v48
	v_sub_f32_e32 v52, v49, v52
	v_fmac_f32_e32 v120, 0x3eae86e6, v64
	v_add_f32_e32 v48, v142, v53
	s_delay_alu instid0(VALU_DEP_4)
	v_add_f32_e32 v121, v56, v65
	v_sub_f32_e32 v123, v56, v65
	v_dual_sub_f32 v65, v65, v57 :: v_dual_fmac_f32 v132, 0x3eae86e6, v52
	v_add_f32_e32 v122, v69, v67
	v_sub_f32_e32 v124, v69, v67
	v_dual_sub_f32 v67, v67, v71 :: v_dual_sub_f32 v56, v57, v56
	v_sub_f32_e32 v69, v71, v69
	v_mul_f32_e32 v65, 0x3f4a47b2, v65
	v_add_f32_e32 v71, v71, v122
	s_delay_alu instid0(VALU_DEP_4)
	v_mul_f32_e32 v67, 0x3f4a47b2, v67
	v_mul_f32_e32 v122, 0x3d64c772, v56
	v_dual_fmamk_f32 v134, v64, 0xbeae86e6, v118 :: v_dual_add_f32 v117, v66, v61
	v_fma_f32 v60, 0xbf5ff5aa, v60, -v118
	v_sub_f32_e32 v119, v66, v61
	v_dual_sub_f32 v61, v61, v54 :: v_dual_fmac_f32 v120, 0xbee1c552, v55
	v_dual_fmamk_f32 v56, v56, 0x3d64c772, v65 :: v_dual_add_f32 v57, v57, v121
	v_dual_fmamk_f32 v64, v69, 0x3d64c772, v67 :: v_dual_add_f32 v121, v126, v49
	v_dual_mul_f32 v126, 0x3f08b237, v127 :: v_dual_mul_f32 v127, 0x3f08b237, v130
	v_mul_f32_e32 v130, 0x3f5ff5aa, v70
	v_add_f32_e32 v114, v59, v51
	v_sub_f32_e32 v66, v54, v66
	v_fmac_f32_e32 v134, 0xbee1c552, v55
	v_add_f32_e32 v54, v117, v54
	v_fmamk_f32 v118, v52, 0xbeae86e6, v127
	v_add_f32_e32 v62, v63, v114
	v_fmac_f32_e32 v60, 0xbee1c552, v55
	v_mul_f32_e32 v117, 0x3f08b237, v119
	v_dual_mul_f32 v119, 0x3f5ff5aa, v61 :: v_dual_sub_f32 v116, v59, v51
	v_dual_sub_f32 v51, v51, v63 :: v_dual_fmac_f32 v118, 0xbee1c552, v121
	v_add_f32_e32 v49, v143, v62
	s_delay_alu instid0(VALU_DEP_4) | instskip(NEXT) | instid1(VALU_DEP_4)
	v_fmamk_f32 v133, v66, 0xbeae86e6, v117
	v_fmac_f32_e32 v119, 0x3eae86e6, v66
	v_fma_f32 v66, 0x3f3bfb3b, v123, -v122
	v_fma_f32 v122, 0xbf5ff5aa, v70, -v126
	v_sub_f32_e32 v59, v63, v59
	v_dual_mul_f32 v63, 0x3d64c772, v58 :: v_dual_fmamk_f32 v58, v58, 0x3d64c772, v50
	v_fmamk_f32 v52, v53, 0xbf955555, v48
	v_fma_f32 v61, 0xbf5ff5aa, v61, -v117
	v_fmac_f32_e32 v130, 0x3eae86e6, v113
	s_delay_alu instid0(VALU_DEP_4)
	v_fma_f32 v63, 0x3f3bfb3b, v115, -v63
	v_fma_f32 v115, 0xbf3bfb3b, v115, -v50
	v_dual_add_f32 v50, v144, v57 :: v_dual_fmamk_f32 v53, v62, 0xbf955555, v49
	v_add_f32_e32 v62, v58, v52
	v_fma_f32 v65, 0xbf3bfb3b, v123, -v65
	v_fmac_f32_e32 v133, 0xbee1c552, v54
	v_fmac_f32_e32 v61, 0xbee1c552, v54
	;; [unrolled: 1-line block ×3, first 2 shown]
	v_fmamk_f32 v54, v57, 0xbf955555, v50
	v_add_f32_e32 v58, v63, v52
	v_dual_add_f32 v63, v115, v52 :: v_dual_add_f32 v52, v134, v62
	v_fma_f32 v70, 0xbf5ff5aa, v131, -v127
	v_mul_f32_e32 v51, 0x3f4a47b2, v51
	v_fmac_f32_e32 v122, 0xbee1c552, v68
	v_mul_f32_e32 v114, 0x3d64c772, v59
	v_fmac_f32_e32 v132, 0xbee1c552, v121
	v_dual_fmac_f32 v70, 0xbee1c552, v121 :: v_dual_add_f32 v121, v65, v54
	v_fmamk_f32 v117, v113, 0xbeae86e6, v126
	s_delay_alu instid0(VALU_DEP_4)
	v_fma_f32 v114, 0x3f3bfb3b, v116, -v114
	v_add_f32_e32 v115, v56, v54
	v_add_f32_e32 v113, v66, v54
	v_dual_sub_f32 v56, v58, v60 :: v_dual_fmamk_f32 v59, v59, 0x3d64c772, v51
	v_fma_f32 v116, 0xbf3bfb3b, v116, -v51
	v_dual_add_f32 v66, v132, v121 :: v_dual_add_f32 v51, v145, v71
	v_fmac_f32_e32 v117, 0xbee1c552, v68
	v_fmac_f32_e32 v130, 0xbee1c552, v68
	v_add_f32_e32 v68, v59, v53
	v_add_f32_e32 v59, v114, v53
	v_fmamk_f32 v55, v71, 0xbf955555, v51
	v_add_f32_e32 v71, v116, v53
	v_add_f32_e32 v54, v120, v63
	v_sub_f32_e32 v53, v68, v133
	v_add_f32_e32 v58, v60, v58
	v_dual_add_f32 v116, v64, v55 :: v_dual_mul_f32 v125, 0x3d64c772, v69
	v_sub_f32_e32 v60, v63, v120
	v_add_f32_e32 v63, v133, v68
	v_sub_f32_e32 v68, v113, v70
	v_add_f32_e32 v70, v70, v113
	v_fma_f32 v69, 0x3f3bfb3b, v124, -v125
	v_fma_f32 v67, 0xbf3bfb3b, v124, -v67
	v_add_f32_e32 v57, v61, v59
	v_sub_f32_e32 v59, v59, v61
	v_add_f32_e32 v61, v119, v71
	v_add_f32_e32 v114, v69, v55
	;; [unrolled: 1-line block ×3, first 2 shown]
	v_dual_sub_f32 v55, v71, v119 :: v_dual_sub_f32 v62, v62, v134
	v_dual_add_f32 v64, v118, v115 :: v_dual_sub_f32 v65, v116, v117
	s_delay_alu instid0(VALU_DEP_3)
	v_sub_f32_e32 v67, v123, v130
	v_add_f32_e32 v69, v122, v114
	v_sub_f32_e32 v71, v114, v122
	v_dual_sub_f32 v113, v121, v132 :: v_dual_add_f32 v114, v130, v123
	v_dual_sub_f32 v115, v115, v118 :: v_dual_add_f32 v116, v117, v116
	ds_store_2addr_b64 v128, v[48:49], v[52:53] offset1:4
	ds_store_2addr_b64 v128, v[54:55], v[56:57] offset0:8 offset1:12
	ds_store_2addr_b64 v128, v[58:59], v[60:61] offset0:16 offset1:20
	ds_store_b64 v128, v[62:63] offset:192
	ds_store_2addr_b64 v129, v[50:51], v[64:65] offset1:4
	ds_store_2addr_b64 v129, v[66:67], v[68:69] offset0:8 offset1:12
	ds_store_2addr_b64 v129, v[70:71], v[113:114] offset0:16 offset1:20
	ds_store_b64 v129, v[115:116] offset:192
	global_wb scope:SCOPE_SE
	s_wait_dscnt 0x0
	s_barrier_signal -1
	s_barrier_wait -1
	global_inv scope:SCOPE_SE
	ds_load_2addr_b64 v[48:51], v106 offset0:68 offset1:166
	ds_load_2addr_b64 v[55:58], v104 offset0:136 offset1:234
	;; [unrolled: 1-line block ×6, first 2 shown]
	v_mad_co_u64_u32 v[52:53], null, s4, v110, 0
	v_mov_b32_e32 v54, v102
	ds_load_2addr_b64 v[117:120], v109 offset1:98
	global_wb scope:SCOPE_SE
	s_wait_dscnt 0x0
	s_barrier_signal -1
	s_barrier_wait -1
	global_inv scope:SCOPE_SE
	v_mad_co_u64_u32 v[121:122], null, s7, v100, v[54:55]
	v_mad_co_u64_u32 v[53:54], null, s5, v110, v[53:54]
	v_mul_f32_e32 v54, v45, v49
	v_mul_f32_e32 v100, v41, v60
	v_mul_f32_e32 v102, v43, v64
	v_mul_f32_e32 v122, v39, v114
	v_mul_f32_e32 v110, v37, v68
	v_mul_f32_e32 v37, v37, v67
	v_mul_f32_e32 v39, v39, v113
	v_mul_f32_e32 v127, v25, v70
	v_dual_mul_f32 v25, v25, v69 :: v_dual_mul_f32 v128, v27, v116
	v_dual_mul_f32 v27, v27, v115 :: v_dual_fmac_f32 v54, v44, v48
	v_fmac_f32_e32 v100, v40, v59
	v_fmac_f32_e32 v102, v42, v63
	;; [unrolled: 1-line block ×4, first 2 shown]
	v_fma_f32 v36, v36, v68, -v37
	v_fma_f32 v37, v38, v114, -v39
	v_fmac_f32_e32 v127, v24, v69
	v_fma_f32 v24, v24, v70, -v25
	v_fmac_f32_e32 v128, v26, v115
	v_fma_f32 v25, v26, v116, -v27
	v_add_f32_e32 v26, v54, v122
	v_dual_add_f32 v38, v100, v102 :: v_dual_mul_f32 v71, v47, v56
	v_mul_f32_e32 v123, v33, v51
	v_mul_f32_e32 v33, v33, v50
	;; [unrolled: 1-line block ×4, first 2 shown]
	v_fmac_f32_e32 v71, v46, v55
	v_fmac_f32_e32 v123, v32, v50
	v_fma_f32 v32, v32, v51, -v33
	v_fmac_f32_e32 v124, v34, v57
	v_fma_f32 v33, v34, v58, -v35
	v_dual_add_f32 v34, v71, v110 :: v_dual_mul_f32 v45, v45, v48
	v_mul_f32_e32 v47, v47, v55
	v_mul_f32_e32 v126, v31, v66
	s_delay_alu instid0(VALU_DEP_3) | instskip(NEXT) | instid1(VALU_DEP_4)
	v_dual_mul_f32 v31, v31, v65 :: v_dual_sub_f32 v50, v34, v26
	v_fma_f32 v44, v44, v49, -v45
	s_delay_alu instid0(VALU_DEP_4) | instskip(SKIP_2) | instid1(VALU_DEP_4)
	v_fma_f32 v45, v46, v56, -v47
	v_dual_sub_f32 v46, v124, v127 :: v_dual_mul_f32 v125, v29, v62
	v_fmac_f32_e32 v126, v30, v65
	v_add_f32_e32 v27, v44, v37
	v_lshlrev_b64_e32 v[52:53], 3, v[52:53]
	s_mov_b32 s4, 0x515a4f1d
	v_fmac_f32_e32 v125, v28, v61
	s_mov_b32 s5, 0x3f47e225
	s_delay_alu instid0(VALU_DEP_1) | instskip(SKIP_1) | instid1(VALU_DEP_1)
	v_sub_f32_e32 v48, v126, v125
	v_mul_f32_e32 v29, v29, v61
	v_fma_f32 v28, v28, v62, -v29
	v_fma_f32 v29, v30, v66, -v31
	v_dual_sub_f32 v30, v54, v122 :: v_dual_mul_f32 v43, v43, v63
	v_sub_f32_e32 v31, v44, v37
	v_sub_f32_e32 v37, v71, v110
	v_mul_f32_e32 v41, v41, v59
	v_dual_add_f32 v47, v28, v29 :: v_dual_sub_f32 v28, v29, v28
	v_add_f32_e32 v29, v34, v26
	v_sub_f32_e32 v26, v26, v38
	s_delay_alu instid0(VALU_DEP_4)
	v_fma_f32 v40, v40, v60, -v41
	v_fma_f32 v41, v42, v64, -v43
	v_sub_f32_e32 v42, v102, v100
	v_add_f32_e32 v29, v38, v29
	v_dual_add_f32 v43, v32, v25 :: v_dual_mov_b32 v102, v121
	v_sub_f32_e32 v34, v38, v34
	s_delay_alu instid0(VALU_DEP_4) | instskip(SKIP_3) | instid1(VALU_DEP_4)
	v_add_f32_e32 v54, v42, v37
	v_sub_f32_e32 v56, v42, v37
	v_sub_f32_e32 v42, v30, v42
	;; [unrolled: 1-line block ×3, first 2 shown]
	v_dual_add_f32 v35, v45, v36 :: v_dual_add_f32 v30, v54, v30
	s_delay_alu instid0(VALU_DEP_4) | instskip(SKIP_1) | instid1(VALU_DEP_4)
	v_mul_f32_e32 v54, 0x3f08b237, v56
	v_sub_f32_e32 v36, v45, v36
	v_mul_f32_e32 v56, 0x3f5ff5aa, v37
	v_sub_f32_e32 v44, v123, v128
	v_add_f32_e32 v62, v48, v46
	v_dual_fmamk_f32 v68, v42, 0xbeae86e6, v54 :: v_dual_sub_f32 v25, v32, v25
	s_delay_alu instid0(VALU_DEP_4) | instskip(SKIP_1) | instid1(VALU_DEP_3)
	v_dual_fmac_f32 v56, 0x3eae86e6, v42 :: v_dual_add_f32 v49, v35, v27
	v_mul_f32_e32 v26, 0x3f4a47b2, v26
	v_dual_fmac_f32 v68, 0xbee1c552, v30 :: v_dual_add_f32 v45, v33, v24
	v_sub_f32_e32 v24, v33, v24
	v_sub_f32_e32 v64, v48, v46
	v_dual_sub_f32 v48, v44, v48 :: v_dual_sub_f32 v51, v35, v27
	s_delay_alu instid0(VALU_DEP_4)
	v_add_f32_e32 v59, v45, v43
	v_sub_f32_e32 v61, v45, v43
	v_sub_f32_e32 v43, v43, v47
	;; [unrolled: 1-line block ×3, first 2 shown]
	v_add_f32_e32 v63, v28, v24
	v_sub_f32_e32 v46, v46, v44
	s_delay_alu instid0(VALU_DEP_4) | instskip(SKIP_2) | instid1(VALU_DEP_3)
	v_dual_sub_f32 v66, v24, v25 :: v_dual_mul_f32 v43, 0x3f4a47b2, v43
	v_dual_add_f32 v39, v40, v41 :: v_dual_sub_f32 v40, v41, v40
	v_dual_add_f32 v44, v62, v44 :: v_dual_add_f32 v33, v125, v126
	v_mul_f32_e32 v67, 0x3f5ff5aa, v66
	v_fma_f32 v37, 0xbf5ff5aa, v37, -v54
	s_delay_alu instid0(VALU_DEP_4) | instskip(SKIP_2) | instid1(VALU_DEP_4)
	v_add_f32_e32 v55, v40, v36
	v_sub_f32_e32 v57, v40, v36
	v_sub_f32_e32 v40, v31, v40
	v_dual_sub_f32 v36, v36, v31 :: v_dual_fmac_f32 v37, 0xbee1c552, v30
	s_delay_alu instid0(VALU_DEP_4) | instskip(NEXT) | instid1(VALU_DEP_4)
	v_add_f32_e32 v31, v55, v31
	v_mul_f32_e32 v55, 0x3f08b237, v57
	v_fmac_f32_e32 v56, 0xbee1c552, v30
	s_delay_alu instid0(VALU_DEP_4) | instskip(NEXT) | instid1(VALU_DEP_3)
	v_mul_f32_e32 v57, 0x3f5ff5aa, v36
	v_fmamk_f32 v69, v40, 0xbeae86e6, v55
	v_fma_f32 v36, 0xbf5ff5aa, v36, -v55
	s_delay_alu instid0(VALU_DEP_3)
	v_fmac_f32_e32 v57, 0x3eae86e6, v40
	v_dual_fmamk_f32 v40, v45, 0x3d64c772, v43 :: v_dual_sub_f32 v27, v27, v39
	v_sub_f32_e32 v35, v39, v35
	v_fmac_f32_e32 v69, 0xbee1c552, v31
	v_sub_f32_e32 v65, v28, v24
	v_dual_add_f32 v41, v123, v128 :: v_dual_add_f32 v24, v117, v29
	v_dual_add_f32 v38, v39, v49 :: v_dual_mul_f32 v39, 0x3d64c772, v34
	v_fmamk_f32 v34, v34, 0x3d64c772, v26
	v_add_f32_e32 v32, v124, v127
	v_sub_f32_e32 v28, v25, v28
	v_fmac_f32_e32 v36, 0xbee1c552, v31
	v_add_f32_e32 v47, v47, v59
	v_fma_f32 v39, 0x3f3bfb3b, v50, -v39
	v_add_f32_e32 v58, v32, v41
	v_sub_f32_e32 v60, v32, v41
	v_sub_f32_e32 v41, v41, v33
	;; [unrolled: 1-line block ×3, first 2 shown]
	v_fma_f32 v50, 0xbf3bfb3b, v50, -v26
	v_fmac_f32_e32 v67, 0x3eae86e6, v28
	s_delay_alu instid0(VALU_DEP_4) | instskip(NEXT) | instid1(VALU_DEP_1)
	v_mul_f32_e32 v41, 0x3f4a47b2, v41
	v_dual_mul_f32 v59, 0x3d64c772, v32 :: v_dual_fmamk_f32 v32, v32, 0x3d64c772, v41
	v_dual_add_f32 v33, v33, v58 :: v_dual_add_f32 v58, v63, v25
	v_dual_mul_f32 v63, 0x3f08b237, v64 :: v_dual_mul_f32 v64, 0x3f08b237, v65
	s_delay_alu instid0(VALU_DEP_2) | instskip(SKIP_1) | instid1(VALU_DEP_3)
	v_dual_add_f32 v25, v118, v38 :: v_dual_add_f32 v26, v119, v33
	v_mul_f32_e32 v65, 0x3f5ff5aa, v46
	v_fmamk_f32 v54, v48, 0xbeae86e6, v63
	s_delay_alu instid0(VALU_DEP_4) | instskip(NEXT) | instid1(VALU_DEP_4)
	v_fmamk_f32 v55, v28, 0xbeae86e6, v64
	v_dual_fmamk_f32 v28, v29, 0xbf955555, v24 :: v_dual_fmamk_f32 v29, v38, 0xbf955555, v25
	v_fmamk_f32 v30, v33, 0xbf955555, v26
	v_fma_f32 v41, 0xbf3bfb3b, v60, -v41
	s_delay_alu instid0(VALU_DEP_3) | instskip(SKIP_1) | instid1(VALU_DEP_4)
	v_dual_fmac_f32 v55, 0xbee1c552, v58 :: v_dual_add_f32 v38, v34, v28
	v_dual_add_f32 v34, v39, v28 :: v_dual_mul_f32 v27, 0x3f4a47b2, v27
	v_dual_add_f32 v39, v50, v28 :: v_dual_add_f32 v50, v32, v30
	s_delay_alu instid0(VALU_DEP_2) | instskip(SKIP_3) | instid1(VALU_DEP_3)
	v_dual_fmac_f32 v67, 0xbee1c552, v58 :: v_dual_sub_f32 v32, v34, v36
	v_fmac_f32_e32 v57, 0xbee1c552, v31
	v_dual_mul_f32 v49, 0x3d64c772, v35 :: v_dual_add_f32 v34, v36, v34
	v_fmamk_f32 v35, v35, 0x3d64c772, v27
	v_dual_fmac_f32 v65, 0x3eae86e6, v48 :: v_dual_sub_f32 v36, v39, v57
	s_delay_alu instid0(VALU_DEP_3)
	v_fma_f32 v49, 0x3f3bfb3b, v51, -v49
	v_fma_f32 v51, 0xbf3bfb3b, v51, -v27
	v_add_f32_e32 v27, v120, v47
	v_fma_f32 v43, 0xbf3bfb3b, v61, -v43
	v_fmac_f32_e32 v54, 0xbee1c552, v44
	v_dual_fmac_f32 v65, 0xbee1c552, v44 :: v_dual_add_f32 v28, v69, v38
	s_delay_alu instid0(VALU_DEP_4) | instskip(SKIP_1) | instid1(VALU_DEP_2)
	v_fmamk_f32 v31, v47, 0xbf955555, v27
	v_add_f32_e32 v47, v51, v29
	v_dual_sub_f32 v38, v38, v69 :: v_dual_add_f32 v51, v40, v31
	v_add_f32_e32 v40, v55, v50
	v_sub_f32_e32 v50, v50, v55
	v_fma_f32 v42, 0x3f3bfb3b, v60, -v59
	v_fma_f32 v59, 0xbf5ff5aa, v46, -v63
	;; [unrolled: 1-line block ×3, first 2 shown]
	v_add_f32_e32 v60, v43, v31
	s_delay_alu instid0(VALU_DEP_3) | instskip(NEXT) | instid1(VALU_DEP_3)
	v_dual_add_f32 v48, v42, v30 :: v_dual_fmac_f32 v59, 0xbee1c552, v44
	v_fmac_f32_e32 v46, 0xbee1c552, v58
	v_add_f32_e32 v58, v41, v30
	v_mul_f32_e32 v62, 0x3d64c772, v45
	v_add_f32_e32 v44, v35, v29
	v_add_f32_e32 v35, v49, v29
	v_dual_add_f32 v30, v57, v39 :: v_dual_sub_f32 v41, v51, v54
	s_delay_alu instid0(VALU_DEP_4) | instskip(NEXT) | instid1(VALU_DEP_4)
	v_fma_f32 v45, 0x3f3bfb3b, v61, -v62
	v_sub_f32_e32 v29, v44, v68
	s_delay_alu instid0(VALU_DEP_4)
	v_add_f32_e32 v33, v37, v35
	v_sub_f32_e32 v35, v35, v37
	v_add_f32_e32 v37, v56, v47
	v_add_f32_e32 v49, v45, v31
	v_sub_f32_e32 v31, v47, v56
	v_dual_add_f32 v39, v68, v44 :: v_dual_add_f32 v42, v67, v58
	v_sub_f32_e32 v43, v60, v65
	s_delay_alu instid0(VALU_DEP_4)
	v_dual_sub_f32 v44, v48, v46 :: v_dual_add_f32 v45, v59, v49
	v_dual_add_f32 v46, v46, v48 :: v_dual_sub_f32 v47, v49, v59
	v_dual_sub_f32 v48, v58, v67 :: v_dual_add_f32 v49, v65, v60
	v_add_f32_e32 v51, v54, v51
	ds_store_2addr_b64 v112, v[24:25], v[28:29] offset1:28
	ds_store_2addr_b64 v112, v[30:31], v[32:33] offset0:56 offset1:84
	ds_store_2addr_b64 v112, v[34:35], v[36:37] offset0:112 offset1:140
	ds_store_b64 v112, v[38:39] offset:1344
	ds_store_2addr_b64 v111, v[26:27], v[40:41] offset1:28
	ds_store_2addr_b64 v111, v[42:43], v[44:45] offset0:56 offset1:84
	ds_store_2addr_b64 v111, v[46:47], v[48:49] offset0:112 offset1:140
	ds_store_b64 v111, v[50:51] offset:1344
	global_wb scope:SCOPE_SE
	s_wait_dscnt 0x0
	s_barrier_signal -1
	s_barrier_wait -1
	global_inv scope:SCOPE_SE
	ds_load_2addr_b64 v[28:31], v106 offset0:68 offset1:166
	ds_load_2addr_b64 v[24:27], v104 offset0:136 offset1:234
	;; [unrolled: 1-line block ×6, first 2 shown]
	v_lshlrev_b64_e32 v[48:49], 3, v[101:102]
	s_delay_alu instid0(VALU_DEP_1) | instskip(SKIP_1) | instid1(VALU_DEP_2)
	v_add_co_u32 v54, vcc_lo, s8, v48
	s_wait_alu 0xfffd
	v_add_co_ci_u32_e32 v55, vcc_lo, s9, v49, vcc_lo
	ds_load_2addr_b64 v[48:51], v109 offset1:98
	s_wait_dscnt 0x6
	v_mul_f32_e32 v62, v17, v31
	s_wait_dscnt 0x4
	v_mul_f32_e32 v58, v1, v33
	v_mul_f32_e32 v1, v1, v32
	s_wait_dscnt 0x1
	v_mul_f32_e32 v67, v11, v47
	v_mul_f32_e32 v59, v3, v37
	v_dual_mul_f32 v3, v3, v36 :: v_dual_mul_f32 v60, v21, v41
	v_dual_mul_f32 v21, v21, v40 :: v_dual_fmac_f32 v62, v16, v30
	s_delay_alu instid0(VALU_DEP_4)
	v_dual_fmac_f32 v67, v10, v46 :: v_dual_mul_f32 v56, v5, v29
	v_fmac_f32_e32 v58, v0, v32
	v_fma_f32 v0, v0, v33, -v1
	v_fmac_f32_e32 v59, v2, v36
	v_fma_f32 v1, v2, v37, -v3
	;; [unrolled: 2-line block ×3, first 2 shown]
	v_dual_sub_f32 v20, v62, v67 :: v_dual_mul_f32 v61, v23, v45
	v_mul_f32_e32 v64, v13, v35
	v_mul_f32_e32 v13, v13, v34
	;; [unrolled: 1-line block ×3, first 2 shown]
	v_dual_mul_f32 v15, v15, v38 :: v_dual_fmac_f32 v56, v4, v28
	v_fmac_f32_e32 v61, v22, v44
	v_mul_f32_e32 v57, v7, v25
	v_mul_f32_e32 v7, v7, v24
	;; [unrolled: 1-line block ×6, first 2 shown]
	v_fmac_f32_e32 v64, v12, v34
	v_fma_f32 v12, v12, v35, -v13
	v_fmac_f32_e32 v65, v14, v38
	v_fma_f32 v13, v14, v39, -v15
	v_dual_sub_f32 v14, v56, v61 :: v_dual_mul_f32 v5, v5, v28
	v_mul_f32_e32 v63, v19, v27
	v_mul_f32_e32 v19, v19, v26
	v_dual_fmac_f32 v57, v6, v24 :: v_dual_fmac_f32 v66, v8, v42
	s_delay_alu instid0(VALU_DEP_4)
	v_fma_f32 v4, v4, v29, -v5
	v_fma_f32 v5, v6, v25, -v7
	;; [unrolled: 1-line block ×6, first 2 shown]
	v_dual_fmac_f32 v63, v18, v26 :: v_dual_sub_f32 v16, v57, v60
	s_delay_alu instid0(VALU_DEP_3) | instskip(SKIP_1) | instid1(VALU_DEP_4)
	v_dual_sub_f32 v18, v59, v58 :: v_dual_add_f32 v19, v6, v9
	v_dual_sub_f32 v6, v6, v9 :: v_dual_mul_f32 v23, v23, v44
	v_add_f32_e32 v21, v7, v8
	v_sub_f32_e32 v7, v7, v8
	s_delay_alu instid0(VALU_DEP_4)
	v_add_f32_e32 v28, v18, v16
	v_sub_f32_e32 v30, v18, v16
	v_fma_f32 v3, v22, v45, -v23
	v_dual_add_f32 v23, v12, v13 :: v_dual_sub_f32 v12, v13, v12
	v_sub_f32_e32 v18, v14, v18
	v_sub_f32_e32 v16, v16, v14
	v_add_f32_e32 v14, v28, v14
	s_delay_alu instid0(VALU_DEP_4) | instskip(SKIP_3) | instid1(VALU_DEP_4)
	v_dual_mul_f32 v28, 0x3f08b237, v30 :: v_dual_add_f32 v37, v12, v7
	v_sub_f32_e32 v39, v12, v7
	v_dual_sub_f32 v7, v7, v6 :: v_dual_sub_f32 v12, v6, v12
	v_add_f32_e32 v33, v21, v19
	v_add_f32_e32 v6, v37, v6
	v_sub_f32_e32 v35, v21, v19
	s_delay_alu instid0(VALU_DEP_4) | instskip(SKIP_2) | instid1(VALU_DEP_3)
	v_dual_mul_f32 v41, 0x3f5ff5aa, v7 :: v_dual_mul_f32 v30, 0x3f5ff5aa, v16
	v_fma_f32 v16, 0xbf5ff5aa, v16, -v28
	v_dual_add_f32 v17, v0, v1 :: v_dual_sub_f32 v0, v1, v0
	v_fmac_f32_e32 v41, 0x3eae86e6, v12
	v_sub_f32_e32 v21, v23, v21
	v_mul_f32_e32 v39, 0x3f08b237, v39
	v_add_f32_e32 v15, v5, v2
	v_sub_f32_e32 v2, v5, v2
	v_fmac_f32_e32 v41, 0xbee1c552, v6
	v_sub_f32_e32 v19, v19, v23
	v_add_f32_e32 v23, v23, v33
	v_dual_add_f32 v5, v58, v59 :: v_dual_fmac_f32 v30, 0x3eae86e6, v18
	v_fmac_f32_e32 v16, 0xbee1c552, v14
	s_delay_alu instid0(VALU_DEP_4) | instskip(SKIP_1) | instid1(VALU_DEP_4)
	v_dual_add_f32 v10, v56, v61 :: v_dual_mul_f32 v19, 0x3f4a47b2, v19
	v_add_f32_e32 v11, v4, v3
	v_dual_sub_f32 v3, v4, v3 :: v_dual_fmac_f32 v30, 0xbee1c552, v14
	v_dual_add_f32 v4, v57, v60 :: v_dual_add_f32 v29, v0, v2
	s_delay_alu instid0(VALU_DEP_3) | instskip(SKIP_2) | instid1(VALU_DEP_4)
	v_add_f32_e32 v25, v15, v11
	v_sub_f32_e32 v27, v15, v11
	v_sub_f32_e32 v11, v11, v17
	v_add_f32_e32 v13, v4, v10
	v_sub_f32_e32 v26, v4, v10
	v_dual_sub_f32 v10, v10, v5 :: v_dual_sub_f32 v15, v17, v15
	v_dual_sub_f32 v31, v0, v2 :: v_dual_sub_f32 v4, v5, v4
	v_sub_f32_e32 v32, v3, v0
	v_dual_sub_f32 v2, v2, v3 :: v_dual_add_f32 v5, v5, v13
	v_add_f32_e32 v13, v17, v25
	v_add_f32_e32 v17, v29, v3
	v_dual_mul_f32 v3, 0x3f4a47b2, v10 :: v_dual_mul_f32 v10, 0x3f4a47b2, v11
	v_mul_f32_e32 v25, 0x3d64c772, v15
	v_dual_mul_f32 v29, 0x3f08b237, v31 :: v_dual_sub_f32 v22, v63, v66
	v_mul_f32_e32 v37, 0x3d64c772, v21
	s_delay_alu instid0(VALU_DEP_4) | instskip(NEXT) | instid1(VALU_DEP_4)
	v_fmamk_f32 v15, v15, 0x3d64c772, v10
	v_fma_f32 v25, 0x3f3bfb3b, v27, -v25
	v_fma_f32 v10, 0xbf3bfb3b, v27, -v10
	v_fmamk_f32 v27, v18, 0xbeae86e6, v28
	v_fma_f32 v28, 0xbf5ff5aa, v2, -v29
	v_dual_mul_f32 v11, 0x3d64c772, v4 :: v_dual_fmamk_f32 v4, v4, 0x3d64c772, v3
	v_fmamk_f32 v42, v32, 0xbeae86e6, v29
	v_fmamk_f32 v18, v21, 0x3d64c772, v19
	s_delay_alu instid0(VALU_DEP_4) | instskip(SKIP_4) | instid1(VALU_DEP_4)
	v_fmac_f32_e32 v28, 0xbee1c552, v17
	v_sub_f32_e32 v24, v65, v64
	v_fma_f32 v29, 0x3f3bfb3b, v35, -v37
	v_fma_f32 v19, 0xbf3bfb3b, v35, -v19
	v_dual_add_f32 v8, v64, v65 :: v_dual_mul_f32 v31, 0x3f5ff5aa, v2
	v_add_f32_e32 v36, v24, v22
	v_sub_f32_e32 v38, v24, v22
	v_sub_f32_e32 v22, v22, v20
	;; [unrolled: 1-line block ×3, first 2 shown]
	v_fma_f32 v11, 0x3f3bfb3b, v26, -v11
	v_add_f32_e32 v20, v36, v20
	v_mul_f32_e32 v38, 0x3f08b237, v38
	v_mul_f32_e32 v40, 0x3f5ff5aa, v22
	v_fma_f32 v26, 0xbf3bfb3b, v26, -v3
	s_wait_dscnt 0x0
	v_add_f32_e32 v3, v51, v23
	v_fmac_f32_e32 v31, 0x3eae86e6, v32
	v_fma_f32 v35, 0xbf5ff5aa, v22, -v38
	v_fma_f32 v22, 0xbf5ff5aa, v7, -v39
	v_dual_add_f32 v1, v62, v67 :: v_dual_fmac_f32 v40, 0x3eae86e6, v24
	v_add_f32_e32 v9, v63, v66
	v_fmac_f32_e32 v27, 0xbee1c552, v14
	s_delay_alu instid0(VALU_DEP_4)
	v_fmac_f32_e32 v22, 0xbee1c552, v6
	v_fmac_f32_e32 v42, 0xbee1c552, v17
	;; [unrolled: 1-line block ×3, first 2 shown]
	v_add_f32_e32 v0, v9, v1
	v_sub_f32_e32 v34, v9, v1
	v_sub_f32_e32 v1, v1, v8
	;; [unrolled: 1-line block ×3, first 2 shown]
	v_fmac_f32_e32 v35, 0xbee1c552, v20
	v_add_f32_e32 v8, v8, v0
	v_add_f32_e32 v0, v48, v5
	v_mul_f32_e32 v33, 0x3f4a47b2, v1
	v_add_f32_e32 v1, v49, v13
	v_mul_f32_e32 v36, 0x3d64c772, v9
	s_delay_alu instid0(VALU_DEP_4) | instskip(NEXT) | instid1(VALU_DEP_4)
	v_dual_add_f32 v2, v50, v8 :: v_dual_fmamk_f32 v5, v5, 0xbf955555, v0
	v_fmamk_f32 v9, v9, 0x3d64c772, v33
	s_delay_alu instid0(VALU_DEP_4)
	v_fmamk_f32 v7, v13, 0xbf955555, v1
	v_fma_f32 v32, 0xbf3bfb3b, v34, -v33
	v_fmamk_f32 v33, v24, 0xbeae86e6, v38
	v_fma_f32 v21, 0x3f3bfb3b, v34, -v36
	v_fmamk_f32 v34, v12, 0xbeae86e6, v39
	v_fmamk_f32 v8, v8, 0xbf955555, v2
	;; [unrolled: 1-line block ×3, first 2 shown]
	v_add_f32_e32 v11, v11, v5
	v_dual_add_f32 v13, v25, v7 :: v_dual_add_f32 v14, v4, v5
	v_add_f32_e32 v15, v15, v7
	v_fmac_f32_e32 v33, 0xbee1c552, v20
	v_dual_fmac_f32 v40, 0xbee1c552, v20 :: v_dual_add_f32 v17, v26, v5
	v_add_f32_e32 v20, v10, v7
	v_fmac_f32_e32 v34, 0xbee1c552, v6
	v_add_f32_e32 v26, v9, v8
	v_add_f32_e32 v36, v18, v12
	v_add_f32_e32 v23, v21, v8
	v_add_f32_e32 v24, v29, v12
	v_add_f32_e32 v25, v32, v8
	v_add_f32_e32 v29, v19, v12
	v_sub_f32_e32 v8, v11, v28
	v_dual_add_f32 v10, v28, v11 :: v_dual_sub_f32 v11, v13, v16
	v_dual_add_f32 v4, v42, v14 :: v_dual_sub_f32 v5, v15, v27
	v_dual_sub_f32 v14, v14, v42 :: v_dual_add_f32 v15, v27, v15
	v_dual_add_f32 v9, v16, v13 :: v_dual_sub_f32 v12, v17, v31
	v_dual_add_f32 v13, v30, v20 :: v_dual_add_f32 v6, v31, v17
	v_dual_add_f32 v16, v34, v26 :: v_dual_sub_f32 v17, v36, v33
	v_dual_sub_f32 v7, v20, v30 :: v_dual_add_f32 v18, v41, v25
	v_dual_sub_f32 v19, v29, v40 :: v_dual_sub_f32 v20, v23, v22
	v_dual_add_f32 v21, v35, v24 :: v_dual_add_f32 v22, v22, v23
	v_dual_sub_f32 v23, v24, v35 :: v_dual_sub_f32 v24, v25, v41
	v_dual_add_f32 v25, v40, v29 :: v_dual_sub_f32 v26, v26, v34
	v_add_f32_e32 v27, v33, v36
	ds_store_b64 v109, v[10:11] offset:6272
	ds_store_b64 v109, v[14:15] offset:9408
	;; [unrolled: 1-line block ×3, first 2 shown]
	ds_store_2addr_b64 v109, v[0:1], v[2:3] offset1:98
	ds_store_2addr_b64 v106, v[4:5], v[16:17] offset0:68 offset1:166
	ds_store_2addr_b64 v104, v[6:7], v[18:19] offset0:136 offset1:234
	;; [unrolled: 1-line block ×3, first 2 shown]
	ds_store_b64 v109, v[22:23] offset:7056
	ds_store_b64 v109, v[24:25] offset:8624
	;; [unrolled: 1-line block ×3, first 2 shown]
	global_wb scope:SCOPE_SE
	s_wait_dscnt 0x0
	s_barrier_signal -1
	s_barrier_wait -1
	global_inv scope:SCOPE_SE
	ds_load_2addr_b64 v[0:3], v109 offset1:98
	ds_load_2addr_b64 v[10:13], v108 offset0:76 offset1:174
	ds_load_2addr_b64 v[14:17], v107 offset0:16 offset1:114
	;; [unrolled: 1-line block ×6, first 2 shown]
	v_add_co_u32 v4, vcc_lo, v54, v52
	s_wait_alu 0xfffd
	v_add_co_ci_u32_e32 v5, vcc_lo, v55, v53, vcc_lo
	s_wait_alu 0xfffe
	s_delay_alu instid0(VALU_DEP_2) | instskip(SKIP_1) | instid1(VALU_DEP_2)
	v_add_co_u32 v6, vcc_lo, v4, s0
	s_wait_alu 0xfffd
	v_add_co_ci_u32_e32 v7, vcc_lo, s1, v5, vcc_lo
	s_delay_alu instid0(VALU_DEP_2) | instskip(SKIP_1) | instid1(VALU_DEP_2)
	v_add_co_u32 v8, vcc_lo, v6, s2
	s_wait_alu 0xfffd
	v_add_co_ci_u32_e32 v9, vcc_lo, s3, v7, vcc_lo
	s_wait_dscnt 0x6
	v_mul_f32_e32 v36, v75, v1
	s_wait_dscnt 0x5
	v_dual_mul_f32 v37, v75, v0 :: v_dual_mul_f32 v38, v73, v13
	v_mul_f32_e32 v39, v73, v12
	v_mul_f32_e32 v40, v77, v3
	;; [unrolled: 1-line block ×3, first 2 shown]
	s_wait_dscnt 0x4
	v_mul_f32_e32 v42, v85, v15
	s_wait_dscnt 0x3
	v_dual_mul_f32 v43, v85, v14 :: v_dual_mul_f32 v44, v79, v19
	v_mul_f32_e32 v45, v79, v18
	v_mul_f32_e32 v46, v83, v17
	;; [unrolled: 1-line block ×3, first 2 shown]
	v_fmac_f32_e32 v36, v74, v0
	v_fma_f32 v37, v74, v1, -v37
	v_mul_f32_e32 v48, v81, v21
	v_mul_f32_e32 v49, v81, v20
	s_wait_dscnt 0x2
	v_mul_f32_e32 v51, v87, v22
	s_wait_dscnt 0x1
	v_mul_f32_e32 v53, v91, v26
	v_mul_f32_e32 v55, v89, v24
	;; [unrolled: 1-line block ×3, first 2 shown]
	s_wait_dscnt 0x0
	v_dual_mul_f32 v59, v95, v30 :: v_dual_mul_f32 v60, v97, v11
	v_dual_mul_f32 v61, v97, v10 :: v_dual_fmac_f32 v38, v72, v12
	v_fma_f32 v12, v72, v13, -v39
	v_mul_f32_e32 v50, v87, v23
	v_fmac_f32_e32 v40, v76, v2
	v_fma_f32 v39, v76, v3, -v41
	v_mul_f32_e32 v52, v91, v27
	v_fmac_f32_e32 v42, v84, v14
	;; [unrolled: 3-line block ×4, first 2 shown]
	v_fma_f32 v45, v82, v17, -v47
	v_cvt_f64_f32_e32 v[0:1], v36
	v_cvt_f64_f32_e32 v[2:3], v37
	v_mul_f32_e32 v58, v95, v31
	v_mul_f32_e32 v62, v99, v33
	;; [unrolled: 1-line block ×3, first 2 shown]
	v_fmac_f32_e32 v48, v80, v20
	v_fma_f32 v47, v80, v21, -v49
	v_fmac_f32_e32 v58, v94, v30
	v_fma_f32 v49, v86, v23, -v51
	v_fma_f32 v51, v90, v27, -v53
	;; [unrolled: 1-line block ×5, first 2 shown]
	v_fmac_f32_e32 v60, v96, v10
	v_fma_f32 v59, v96, v11, -v61
	v_cvt_f64_f32_e32 v[10:11], v38
	v_cvt_f64_f32_e32 v[12:13], v12
	v_fmac_f32_e32 v50, v86, v22
	v_cvt_f64_f32_e32 v[14:15], v40
	v_cvt_f64_f32_e32 v[16:17], v39
	v_fmac_f32_e32 v52, v90, v26
	;; [unrolled: 3-line block ×5, first 2 shown]
	v_fma_f32 v63, v98, v33, -v63
	v_cvt_f64_f32_e32 v[30:31], v48
	v_cvt_f64_f32_e32 v[32:33], v47
	;; [unrolled: 1-line block ×16, first 2 shown]
	v_mul_f64_e32 v[0:1], s[4:5], v[0:1]
	v_mul_f64_e32 v[2:3], s[4:5], v[2:3]
	v_add_co_u32 v34, vcc_lo, v8, s0
	s_wait_alu 0xfffd
	v_add_co_ci_u32_e32 v35, vcc_lo, s1, v9, vcc_lo
	v_mul_f64_e32 v[10:11], s[4:5], v[10:11]
	v_mul_f64_e32 v[12:13], s[4:5], v[12:13]
	v_add_co_u32 v64, vcc_lo, v34, s2
	v_mul_f64_e32 v[14:15], s[4:5], v[14:15]
	v_mul_f64_e32 v[16:17], s[4:5], v[16:17]
	;; [unrolled: 1-line block ×4, first 2 shown]
	s_wait_alu 0xfffd
	v_add_co_ci_u32_e32 v65, vcc_lo, s3, v35, vcc_lo
	v_mul_f64_e32 v[22:23], s[4:5], v[22:23]
	v_mul_f64_e32 v[24:25], s[4:5], v[24:25]
	;; [unrolled: 1-line block ×4, first 2 shown]
	v_add_co_u32 v66, vcc_lo, v64, s0
	v_mul_f64_e32 v[30:31], s[4:5], v[30:31]
	v_mul_f64_e32 v[32:33], s[4:5], v[32:33]
	;; [unrolled: 1-line block ×16, first 2 shown]
	s_wait_alu 0xfffd
	v_add_co_ci_u32_e32 v67, vcc_lo, s1, v65, vcc_lo
	v_cvt_f32_f64_e32 v0, v[0:1]
	v_cvt_f32_f64_e32 v1, v[2:3]
	v_add_co_u32 v68, vcc_lo, v66, s2
	v_cvt_f32_f64_e32 v2, v[10:11]
	v_cvt_f32_f64_e32 v3, v[12:13]
	s_wait_alu 0xfffd
	v_add_co_ci_u32_e32 v69, vcc_lo, s3, v67, vcc_lo
	v_cvt_f32_f64_e32 v10, v[14:15]
	v_cvt_f32_f64_e32 v11, v[16:17]
	;; [unrolled: 1-line block ×4, first 2 shown]
	v_add_co_u32 v70, vcc_lo, v68, s0
	v_cvt_f32_f64_e32 v14, v[22:23]
	v_cvt_f32_f64_e32 v15, v[24:25]
	;; [unrolled: 1-line block ×4, first 2 shown]
	s_wait_alu 0xfffd
	v_add_co_ci_u32_e32 v71, vcc_lo, s1, v69, vcc_lo
	v_cvt_f32_f64_e32 v18, v[30:31]
	v_cvt_f32_f64_e32 v19, v[32:33]
	;; [unrolled: 1-line block ×10, first 2 shown]
	v_add_co_u32 v72, vcc_lo, v70, s2
	v_cvt_f32_f64_e32 v28, v[52:53]
	v_cvt_f32_f64_e32 v29, v[54:55]
	;; [unrolled: 1-line block ×4, first 2 shown]
	s_wait_alu 0xfffd
	v_add_co_ci_u32_e32 v73, vcc_lo, s3, v71, vcc_lo
	v_cvt_f32_f64_e32 v32, v[60:61]
	v_cvt_f32_f64_e32 v33, v[62:63]
	v_add_co_u32 v36, vcc_lo, v72, s0
	s_wait_alu 0xfffd
	v_add_co_ci_u32_e32 v37, vcc_lo, s1, v73, vcc_lo
	s_delay_alu instid0(VALU_DEP_2) | instskip(SKIP_1) | instid1(VALU_DEP_2)
	v_add_co_u32 v38, vcc_lo, v36, s2
	s_wait_alu 0xfffd
	v_add_co_ci_u32_e32 v39, vcc_lo, s3, v37, vcc_lo
	s_delay_alu instid0(VALU_DEP_2) | instskip(SKIP_1) | instid1(VALU_DEP_2)
	;; [unrolled: 4-line block ×4, first 2 shown]
	v_add_co_u32 v44, vcc_lo, v42, s0
	s_wait_alu 0xfffd
	v_add_co_ci_u32_e32 v45, vcc_lo, s1, v43, vcc_lo
	s_clause 0x4
	global_store_b64 v[4:5], v[0:1], off
	global_store_b64 v[6:7], v[2:3], off
	;; [unrolled: 1-line block ×14, first 2 shown]
.LBB0_2:
	s_nop 0
	s_sendmsg sendmsg(MSG_DEALLOC_VGPRS)
	s_endpgm
	.section	.rodata,"a",@progbits
	.p2align	6, 0x0
	.amdhsa_kernel bluestein_single_fwd_len1372_dim1_sp_op_CI_CI
		.amdhsa_group_segment_fixed_size 21952
		.amdhsa_private_segment_fixed_size 0
		.amdhsa_kernarg_size 104
		.amdhsa_user_sgpr_count 2
		.amdhsa_user_sgpr_dispatch_ptr 0
		.amdhsa_user_sgpr_queue_ptr 0
		.amdhsa_user_sgpr_kernarg_segment_ptr 1
		.amdhsa_user_sgpr_dispatch_id 0
		.amdhsa_user_sgpr_private_segment_size 0
		.amdhsa_wavefront_size32 1
		.amdhsa_uses_dynamic_stack 0
		.amdhsa_enable_private_segment 0
		.amdhsa_system_sgpr_workgroup_id_x 1
		.amdhsa_system_sgpr_workgroup_id_y 0
		.amdhsa_system_sgpr_workgroup_id_z 0
		.amdhsa_system_sgpr_workgroup_info 0
		.amdhsa_system_vgpr_workitem_id 0
		.amdhsa_next_free_vgpr 185
		.amdhsa_next_free_sgpr 20
		.amdhsa_reserve_vcc 1
		.amdhsa_float_round_mode_32 0
		.amdhsa_float_round_mode_16_64 0
		.amdhsa_float_denorm_mode_32 3
		.amdhsa_float_denorm_mode_16_64 3
		.amdhsa_fp16_overflow 0
		.amdhsa_workgroup_processor_mode 1
		.amdhsa_memory_ordered 1
		.amdhsa_forward_progress 0
		.amdhsa_round_robin_scheduling 0
		.amdhsa_exception_fp_ieee_invalid_op 0
		.amdhsa_exception_fp_denorm_src 0
		.amdhsa_exception_fp_ieee_div_zero 0
		.amdhsa_exception_fp_ieee_overflow 0
		.amdhsa_exception_fp_ieee_underflow 0
		.amdhsa_exception_fp_ieee_inexact 0
		.amdhsa_exception_int_div_zero 0
	.end_amdhsa_kernel
	.text
.Lfunc_end0:
	.size	bluestein_single_fwd_len1372_dim1_sp_op_CI_CI, .Lfunc_end0-bluestein_single_fwd_len1372_dim1_sp_op_CI_CI
                                        ; -- End function
	.section	.AMDGPU.csdata,"",@progbits
; Kernel info:
; codeLenInByte = 13972
; NumSgprs: 22
; NumVgprs: 185
; ScratchSize: 0
; MemoryBound: 0
; FloatMode: 240
; IeeeMode: 1
; LDSByteSize: 21952 bytes/workgroup (compile time only)
; SGPRBlocks: 2
; VGPRBlocks: 23
; NumSGPRsForWavesPerEU: 22
; NumVGPRsForWavesPerEU: 185
; Occupancy: 8
; WaveLimiterHint : 1
; COMPUTE_PGM_RSRC2:SCRATCH_EN: 0
; COMPUTE_PGM_RSRC2:USER_SGPR: 2
; COMPUTE_PGM_RSRC2:TRAP_HANDLER: 0
; COMPUTE_PGM_RSRC2:TGID_X_EN: 1
; COMPUTE_PGM_RSRC2:TGID_Y_EN: 0
; COMPUTE_PGM_RSRC2:TGID_Z_EN: 0
; COMPUTE_PGM_RSRC2:TIDIG_COMP_CNT: 0
	.text
	.p2alignl 7, 3214868480
	.fill 96, 4, 3214868480
	.type	__hip_cuid_6822584870594adb,@object ; @__hip_cuid_6822584870594adb
	.section	.bss,"aw",@nobits
	.globl	__hip_cuid_6822584870594adb
__hip_cuid_6822584870594adb:
	.byte	0                               ; 0x0
	.size	__hip_cuid_6822584870594adb, 1

	.ident	"AMD clang version 19.0.0git (https://github.com/RadeonOpenCompute/llvm-project roc-6.4.0 25133 c7fe45cf4b819c5991fe208aaa96edf142730f1d)"
	.section	".note.GNU-stack","",@progbits
	.addrsig
	.addrsig_sym __hip_cuid_6822584870594adb
	.amdgpu_metadata
---
amdhsa.kernels:
  - .args:
      - .actual_access:  read_only
        .address_space:  global
        .offset:         0
        .size:           8
        .value_kind:     global_buffer
      - .actual_access:  read_only
        .address_space:  global
        .offset:         8
        .size:           8
        .value_kind:     global_buffer
      - .actual_access:  read_only
        .address_space:  global
        .offset:         16
        .size:           8
        .value_kind:     global_buffer
      - .actual_access:  read_only
        .address_space:  global
        .offset:         24
        .size:           8
        .value_kind:     global_buffer
      - .actual_access:  read_only
        .address_space:  global
        .offset:         32
        .size:           8
        .value_kind:     global_buffer
      - .offset:         40
        .size:           8
        .value_kind:     by_value
      - .address_space:  global
        .offset:         48
        .size:           8
        .value_kind:     global_buffer
      - .address_space:  global
        .offset:         56
        .size:           8
        .value_kind:     global_buffer
      - .address_space:  global
        .offset:         64
        .size:           8
        .value_kind:     global_buffer
      - .address_space:  global
        .offset:         72
        .size:           8
        .value_kind:     global_buffer
      - .offset:         80
        .size:           4
        .value_kind:     by_value
      - .address_space:  global
        .offset:         88
        .size:           8
        .value_kind:     global_buffer
      - .address_space:  global
        .offset:         96
        .size:           8
        .value_kind:     global_buffer
    .group_segment_fixed_size: 21952
    .kernarg_segment_align: 8
    .kernarg_segment_size: 104
    .language:       OpenCL C
    .language_version:
      - 2
      - 0
    .max_flat_workgroup_size: 196
    .name:           bluestein_single_fwd_len1372_dim1_sp_op_CI_CI
    .private_segment_fixed_size: 0
    .sgpr_count:     22
    .sgpr_spill_count: 0
    .symbol:         bluestein_single_fwd_len1372_dim1_sp_op_CI_CI.kd
    .uniform_work_group_size: 1
    .uses_dynamic_stack: false
    .vgpr_count:     185
    .vgpr_spill_count: 0
    .wavefront_size: 32
    .workgroup_processor_mode: 1
amdhsa.target:   amdgcn-amd-amdhsa--gfx1201
amdhsa.version:
  - 1
  - 2
...

	.end_amdgpu_metadata
